;; amdgpu-corpus repo=ROCm/rocFFT kind=compiled arch=gfx1030 opt=O3
	.text
	.amdgcn_target "amdgcn-amd-amdhsa--gfx1030"
	.amdhsa_code_object_version 6
	.protected	bluestein_single_back_len1092_dim1_dp_op_CI_CI ; -- Begin function bluestein_single_back_len1092_dim1_dp_op_CI_CI
	.globl	bluestein_single_back_len1092_dim1_dp_op_CI_CI
	.p2align	8
	.type	bluestein_single_back_len1092_dim1_dp_op_CI_CI,@function
bluestein_single_back_len1092_dim1_dp_op_CI_CI: ; @bluestein_single_back_len1092_dim1_dp_op_CI_CI
; %bb.0:
	s_load_dwordx4 s[8:11], s[4:5], 0x28
	v_mul_u32_u24_e32 v1, 0x4ed, v0
	s_mov_b64 s[50:51], s[2:3]
	s_mov_b64 s[48:49], s[0:1]
	v_mov_b32_e32 v14, 0
	s_add_u32 s48, s48, s7
	v_lshrrev_b32_e32 v1, 16, v1
	s_addc_u32 s49, s49, 0
	s_mov_b32 s0, exec_lo
	v_add_nc_u32_e32 v13, s6, v1
	s_waitcnt lgkmcnt(0)
	v_cmpx_gt_u64_e64 s[8:9], v[13:14]
	s_cbranch_execz .LBB0_31
; %bb.1:
	s_clause 0x1
	s_load_dwordx4 s[0:3], s[4:5], 0x18
	s_load_dwordx2 s[6:7], s[4:5], 0x0
	v_mul_lo_u16 v1, v1, 52
	v_sub_nc_u16 v2, v0, v1
	v_and_b32_e32 v152, 0xffff, v2
	v_lshlrev_b32_e32 v92, 4, v152
	s_waitcnt lgkmcnt(0)
	s_load_dwordx4 s[12:15], s[0:1], 0x0
	s_clause 0x2
	global_load_dwordx4 v[120:123], v92, s[6:7]
	global_load_dwordx4 v[124:127], v92, s[6:7] offset:832
	global_load_dwordx4 v[116:119], v92, s[6:7] offset:1664
	v_add_co_u32 v95, s0, s6, v92
	v_add_co_ci_u32_e64 v94, null, s7, 0, s0
	v_add_co_u32 v11, vcc_lo, 0x2000, v95
	v_add_co_ci_u32_e32 v12, vcc_lo, 0, v94, vcc_lo
	v_add_co_u32 v0, vcc_lo, 0x2800, v95
	v_add_co_ci_u32_e32 v1, vcc_lo, 0, v94, vcc_lo
	global_load_dwordx4 v[193:196], v[11:12], off offset:544
	buffer_store_dword v11, off, s[48:51], 0 offset:160 ; 4-byte Folded Spill
	buffer_store_dword v12, off, s[48:51], 0 offset:164 ; 4-byte Folded Spill
	v_add_co_u32 v3, vcc_lo, 0x800, v95
	s_waitcnt lgkmcnt(0)
	v_mad_u64_u32 v[7:8], null, s14, v13, 0
	v_mad_u64_u32 v[9:10], null, s12, v152, 0
	v_add_co_ci_u32_e32 v4, vcc_lo, 0, v94, vcc_lo
	v_add_co_u32 v63, vcc_lo, 0x1000, v95
	v_add_co_ci_u32_e32 v64, vcc_lo, 0, v94, vcc_lo
	v_add_co_u32 v5, vcc_lo, 0x3000, v95
	;; [unrolled: 2-line block ×3, first 2 shown]
	v_add_co_ci_u32_e32 v80, vcc_lo, 0, v94, vcc_lo
	s_mul_i32 s1, s13, 0x222
	s_mul_hi_u32 s7, s12, 0x222
	s_mul_i32 s0, s12, 0x222
	s_mul_hi_u32 s9, s12, 0xfffffe12
	s_add_i32 s1, s7, s1
	s_mul_i32 s8, s13, 0xfffffe12
	s_mul_i32 s6, s12, 0xfffffe12
	s_sub_i32 s7, s9, s12
	s_clause 0x2
	global_load_dwordx4 v[189:192], v[11:12], off offset:1376
	global_load_dwordx4 v[185:188], v[0:1], off offset:160
	;; [unrolled: 1-line block ×3, first 2 shown]
	v_mov_b32_e32 v11, v13
	buffer_store_dword v11, off, s[48:51], 0 offset:168 ; 4-byte Folded Spill
	buffer_store_dword v12, off, s[48:51], 0 offset:172 ; 4-byte Folded Spill
	v_mad_u64_u32 v[11:12], null, s15, v13, v[8:9]
	s_clause 0x2
	global_load_dwordx4 v[181:184], v[3:4], off offset:448
	global_load_dwordx4 v[128:131], v[3:4], off offset:1280
	;; [unrolled: 1-line block ×3, first 2 shown]
	s_add_i32 s7, s7, s8
	s_clause 0x3
	global_load_dwordx4 v[169:172], v[63:64], off offset:64
	global_load_dwordx4 v[136:139], v[63:64], off offset:896
	;; [unrolled: 1-line block ×4, first 2 shown]
	v_mad_u64_u32 v[3:4], null, s13, v152, v[10:11]
	v_mov_b32_e32 v8, v11
	s_lshl_b64 s[12:13], s[0:1], 4
	s_lshl_b64 s[0:1], s[6:7], 4
	s_load_dwordx2 s[6:7], s[4:5], 0x38
	v_lshlrev_b64 v[0:1], 4, v[7:8]
	v_mov_b32_e32 v10, v3
	v_lshlrev_b64 v[3:4], 4, v[9:10]
	v_add_co_u32 v0, vcc_lo, s10, v0
	v_add_co_ci_u32_e32 v1, vcc_lo, s11, v1, vcc_lo
	v_add_co_u32 v0, vcc_lo, v0, v3
	v_add_co_ci_u32_e32 v1, vcc_lo, v1, v4, vcc_lo
	;; [unrolled: 2-line block ×4, first 2 shown]
	s_clause 0x1
	global_load_dwordx4 v[3:6], v[0:1], off
	global_load_dwordx4 v[7:10], v[7:8], off
	v_add_co_u32 v15, vcc_lo, v11, s12
	v_add_co_ci_u32_e32 v16, vcc_lo, s13, v12, vcc_lo
	v_add_co_u32 v19, vcc_lo, v15, s0
	v_add_co_ci_u32_e32 v20, vcc_lo, s1, v16, vcc_lo
	s_clause 0x1
	global_load_dwordx4 v[11:14], v[11:12], off
	global_load_dwordx4 v[15:18], v[15:16], off
	v_add_co_u32 v0, vcc_lo, v19, s12
	v_add_co_ci_u32_e32 v1, vcc_lo, s13, v20, vcc_lo
	global_load_dwordx4 v[19:22], v[19:20], off
	v_add_co_u32 v27, vcc_lo, v0, s0
	v_add_co_ci_u32_e32 v28, vcc_lo, s1, v1, vcc_lo
	;; [unrolled: 3-line block ×11, first 2 shown]
	v_add_co_u32 v71, vcc_lo, v65, s0
	v_add_co_ci_u32_e32 v72, vcc_lo, s1, v66, vcc_lo
	v_add_co_u32 v81, vcc_lo, 0x1800, v95
	v_add_co_ci_u32_e32 v82, vcc_lo, 0, v94, vcc_lo
	global_load_dwordx4 v[59:62], v[0:1], off
	global_load_dwordx4 v[144:147], v[63:64], off offset:1728
	global_load_dwordx4 v[63:66], v[65:66], off
	global_load_dwordx4 v[140:143], v[79:80], off offset:224
	global_load_dwordx4 v[67:70], v[71:72], off
	v_add_co_u32 v0, vcc_lo, v71, s12
	v_add_co_ci_u32_e32 v1, vcc_lo, s13, v72, vcc_lo
	global_load_dwordx4 v[148:151], v[81:82], off offset:512
	v_add_co_u32 v75, vcc_lo, v0, s0
	v_add_co_ci_u32_e32 v76, vcc_lo, s1, v1, vcc_lo
	global_load_dwordx4 v[71:74], v[0:1], off
	v_add_co_u32 v0, vcc_lo, v75, s12
	v_add_co_ci_u32_e32 v1, vcc_lo, s13, v76, vcc_lo
	global_load_dwordx4 v[153:156], v[79:80], off offset:1056
	global_load_dwordx4 v[75:78], v[75:76], off
	s_clause 0x1
	global_load_dwordx4 v[157:160], v[81:82], off offset:1344
	global_load_dwordx4 v[161:164], v[79:80], off offset:1888
	global_load_dwordx4 v[79:82], v[0:1], off
	v_cmp_gt_u16_e32 vcc_lo, 26, v2
	s_waitcnt vmcnt(25)
	v_mul_f64 v[83:84], v[5:6], v[122:123]
	s_waitcnt vmcnt(24)
	v_mul_f64 v[87:88], v[9:10], v[195:196]
	v_mul_f64 v[85:86], v[3:4], v[122:123]
	;; [unrolled: 1-line block ×3, first 2 shown]
	s_waitcnt vmcnt(23)
	v_mul_f64 v[96:97], v[13:14], v[126:127]
	s_waitcnt vmcnt(22)
	v_mul_f64 v[100:101], v[17:18], v[191:192]
	v_mul_f64 v[98:99], v[11:12], v[126:127]
	;; [unrolled: 1-line block ×3, first 2 shown]
	s_waitcnt vmcnt(21)
	v_mul_f64 v[104:105], v[21:22], v[118:119]
	v_mul_f64 v[106:107], v[19:20], v[118:119]
	s_waitcnt vmcnt(20)
	v_mul_f64 v[108:109], v[25:26], v[187:188]
	v_fma_f64 v[3:4], v[3:4], v[120:121], v[83:84]
	buffer_store_dword v120, off, s[48:51], 0 offset:224 ; 4-byte Folded Spill
	buffer_store_dword v121, off, s[48:51], 0 offset:228 ; 4-byte Folded Spill
	;; [unrolled: 1-line block ×4, first 2 shown]
	v_fma_f64 v[7:8], v[7:8], v[193:194], v[87:88]
	buffer_store_dword v193, off, s[48:51], 0 offset:480 ; 4-byte Folded Spill
	buffer_store_dword v194, off, s[48:51], 0 offset:484 ; 4-byte Folded Spill
	;; [unrolled: 1-line block ×4, first 2 shown]
	s_waitcnt vmcnt(19)
	v_mul_f64 v[112:113], v[29:30], v[183:184]
	v_mul_f64 v[110:111], v[23:24], v[187:188]
	;; [unrolled: 1-line block ×3, first 2 shown]
	s_waitcnt vmcnt(18)
	v_mul_f64 v[83:84], v[33:34], v[179:180]
	v_fma_f64 v[11:12], v[11:12], v[124:125], v[96:97]
	buffer_store_dword v124, off, s[48:51], 0 offset:240 ; 4-byte Folded Spill
	buffer_store_dword v125, off, s[48:51], 0 offset:244 ; 4-byte Folded Spill
	buffer_store_dword v126, off, s[48:51], 0 offset:248 ; 4-byte Folded Spill
	buffer_store_dword v127, off, s[48:51], 0 offset:252 ; 4-byte Folded Spill
	v_fma_f64 v[15:16], v[15:16], v[189:190], v[100:101]
	buffer_store_dword v189, off, s[48:51], 0 offset:464 ; 4-byte Folded Spill
	buffer_store_dword v190, off, s[48:51], 0 offset:468 ; 4-byte Folded Spill
	buffer_store_dword v191, off, s[48:51], 0 offset:472 ; 4-byte Folded Spill
	buffer_store_dword v192, off, s[48:51], 0 offset:476 ; 4-byte Folded Spill
	s_waitcnt vmcnt(17)
	v_mul_f64 v[87:88], v[37:38], v[130:131]
	v_fma_f64 v[19:20], v[19:20], v[116:117], v[104:105]
	buffer_store_dword v116, off, s[48:51], 0 offset:176 ; 4-byte Folded Spill
	buffer_store_dword v117, off, s[48:51], 0 offset:180 ; 4-byte Folded Spill
	buffer_store_dword v118, off, s[48:51], 0 offset:184 ; 4-byte Folded Spill
	buffer_store_dword v119, off, s[48:51], 0 offset:188 ; 4-byte Folded Spill
	s_waitcnt vmcnt(16)
	v_mul_f64 v[96:97], v[41:42], v[175:176]
	;; [unrolled: 7-line block ×4, first 2 shown]
	s_waitcnt vmcnt(10)
	v_mul_f64 v[108:109], v[61:62], v[146:147]
	s_waitcnt vmcnt(8)
	v_mul_f64 v[112:113], v[65:66], v[142:143]
	;; [unrolled: 2-line block ×5, first 2 shown]
	v_fma_f64 v[5:6], v[5:6], v[120:121], -v[85:86]
	v_mul_f64 v[85:86], v[31:32], v[179:180]
	v_fma_f64 v[9:10], v[9:10], v[193:194], -v[89:90]
	v_mul_f64 v[89:90], v[35:36], v[130:131]
	v_fma_f64 v[31:32], v[31:32], v[177:178], v[83:84]
	buffer_store_dword v177, off, s[48:51], 0 offset:416 ; 4-byte Folded Spill
	buffer_store_dword v178, off, s[48:51], 0 offset:420 ; 4-byte Folded Spill
	;; [unrolled: 1-line block ×4, first 2 shown]
	v_fma_f64 v[35:36], v[35:36], v[128:129], v[87:88]
	buffer_store_dword v128, off, s[48:51], 0 offset:384 ; 4-byte Folded Spill
	buffer_store_dword v129, off, s[48:51], 0 offset:388 ; 4-byte Folded Spill
	;; [unrolled: 1-line block ×4, first 2 shown]
	v_mul_f64 v[83:84], v[53:54], v[138:139]
	v_mul_f64 v[87:88], v[57:58], v[134:135]
	;; [unrolled: 1-line block ×3, first 2 shown]
	v_fma_f64 v[13:14], v[13:14], v[124:125], -v[98:99]
	v_mul_f64 v[124:125], v[77:78], v[159:160]
	v_fma_f64 v[17:18], v[17:18], v[189:190], -v[102:103]
	v_mul_f64 v[98:99], v[39:40], v[175:176]
	v_mul_f64 v[102:103], v[43:44], v[171:172]
	v_fma_f64 v[21:22], v[21:22], v[116:117], -v[106:107]
	v_mul_f64 v[116:117], v[69:70], v[150:151]
	v_mul_f64 v[106:107], v[47:48], v[167:168]
	v_fma_f64 v[39:40], v[39:40], v[173:174], v[96:97]
	buffer_store_dword v173, off, s[48:51], 0 offset:400 ; 4-byte Folded Spill
	buffer_store_dword v174, off, s[48:51], 0 offset:404 ; 4-byte Folded Spill
	;; [unrolled: 1-line block ×4, first 2 shown]
	v_fma_f64 v[25:26], v[25:26], v[185:186], -v[110:111]
	v_mul_f64 v[110:111], v[59:60], v[146:147]
	v_fma_f64 v[43:44], v[43:44], v[169:170], v[100:101]
	buffer_store_dword v169, off, s[48:51], 0 offset:368 ; 4-byte Folded Spill
	buffer_store_dword v170, off, s[48:51], 0 offset:372 ; 4-byte Folded Spill
	;; [unrolled: 1-line block ×4, first 2 shown]
	v_fma_f64 v[47:48], v[47:48], v[165:166], v[104:105]
	v_fma_f64 v[29:30], v[29:30], v[181:182], -v[114:115]
	v_mul_f64 v[114:115], v[63:64], v[142:143]
	buffer_store_dword v165, off, s[48:51], 0 offset:352 ; 4-byte Folded Spill
	buffer_store_dword v166, off, s[48:51], 0 offset:356 ; 4-byte Folded Spill
	;; [unrolled: 1-line block ×4, first 2 shown]
	v_fma_f64 v[59:60], v[59:60], v[144:145], v[108:109]
	v_fma_f64 v[63:64], v[63:64], v[140:141], v[112:113]
	s_waitcnt vmcnt(0)
	v_mul_f64 v[130:131], v[79:80], v[163:164]
	v_fma_f64 v[71:72], v[71:72], v[153:154], v[120:121]
	v_fma_f64 v[75:76], v[75:76], v[157:158], v[124:125]
	;; [unrolled: 1-line block ×3, first 2 shown]
	v_fma_f64 v[33:34], v[33:34], v[177:178], -v[85:86]
	v_mul_f64 v[85:86], v[51:52], v[138:139]
	v_fma_f64 v[37:38], v[37:38], v[128:129], -v[89:90]
	v_mul_f64 v[128:129], v[81:82], v[163:164]
	v_mul_f64 v[89:90], v[55:56], v[134:135]
	v_fma_f64 v[51:52], v[51:52], v[136:137], v[83:84]
	buffer_store_dword v136, off, s[48:51], 0 offset:208 ; 4-byte Folded Spill
	buffer_store_dword v137, off, s[48:51], 0 offset:212 ; 4-byte Folded Spill
	buffer_store_dword v138, off, s[48:51], 0 offset:216 ; 4-byte Folded Spill
	buffer_store_dword v139, off, s[48:51], 0 offset:220 ; 4-byte Folded Spill
	v_fma_f64 v[55:56], v[55:56], v[132:133], v[87:88]
	buffer_store_dword v132, off, s[48:51], 0 offset:192 ; 4-byte Folded Spill
	buffer_store_dword v133, off, s[48:51], 0 offset:196 ; 4-byte Folded Spill
	;; [unrolled: 1-line block ×24, first 2 shown]
	v_fma_f64 v[41:42], v[41:42], v[173:174], -v[98:99]
	v_fma_f64 v[45:46], v[45:46], v[169:170], -v[102:103]
	;; [unrolled: 1-line block ×3, first 2 shown]
	v_fma_f64 v[79:80], v[79:80], v[161:162], v[128:129]
	buffer_store_dword v161, off, s[48:51], 0 offset:336 ; 4-byte Folded Spill
	buffer_store_dword v162, off, s[48:51], 0 offset:340 ; 4-byte Folded Spill
	;; [unrolled: 1-line block ×4, first 2 shown]
	s_load_dwordx4 s[8:11], s[2:3], 0x0
	v_fma_f64 v[53:54], v[53:54], v[136:137], -v[85:86]
	v_fma_f64 v[57:58], v[57:58], v[132:133], -v[89:90]
	;; [unrolled: 1-line block ×7, first 2 shown]
	ds_write_b128 v92, v[3:6]
	ds_write_b128 v92, v[7:10] offset:8736
	ds_write_b128 v92, v[11:14] offset:832
	;; [unrolled: 1-line block ×15, first 2 shown]
	v_fma_f64 v[81:82], v[81:82], v[161:162], -v[130:131]
	ds_write_b128 v92, v[67:70] offset:6656
	ds_write_b128 v92, v[71:74] offset:15392
	ds_write_b128 v92, v[75:78] offset:7488
	ds_write_b128 v92, v[79:82] offset:16224
	s_and_saveexec_b32 s2, vcc_lo
	s_cbranch_execz .LBB0_3
; %bb.2:
	v_add_co_u32 v0, s0, v0, s0
	v_add_co_ci_u32_e64 v1, s0, s1, v1, s0
	v_add_co_u32 v8, s0, 0x4000, v95
	v_add_co_ci_u32_e64 v9, s0, 0, v94, s0
	;; [unrolled: 2-line block ×3, first 2 shown]
	global_load_dwordx4 v[0:3], v[0:1], off
	s_clause 0x1
	buffer_load_dword v4, off, s[48:51], 0 offset:160
	buffer_load_dword v5, off, s[48:51], 0 offset:164
	s_waitcnt vmcnt(0)
	s_clause 0x1
	global_load_dwordx4 v[4:7], v[4:5], off offset:128
	global_load_dwordx4 v[8:11], v[8:9], off offset:672
	global_load_dwordx4 v[12:15], v[12:13], off
	s_waitcnt vmcnt(2)
	v_mul_f64 v[16:17], v[2:3], v[6:7]
	v_mul_f64 v[6:7], v[0:1], v[6:7]
	s_waitcnt vmcnt(0)
	v_mul_f64 v[18:19], v[14:15], v[10:11]
	v_mul_f64 v[10:11], v[12:13], v[10:11]
	v_fma_f64 v[0:1], v[0:1], v[4:5], v[16:17]
	v_fma_f64 v[2:3], v[2:3], v[4:5], -v[6:7]
	v_fma_f64 v[4:5], v[12:13], v[8:9], v[18:19]
	v_fma_f64 v[6:7], v[14:15], v[8:9], -v[10:11]
	ds_write_b128 v92, v[0:3] offset:8320
	ds_write_b128 v92, v[4:7] offset:17056
.LBB0_3:
	s_or_b32 exec_lo, exec_lo, s2
	s_waitcnt lgkmcnt(0)
	s_waitcnt_vscnt null, 0x0
	s_barrier
	buffer_gl0_inv
	ds_read_b128 v[0:3], v92
	ds_read_b128 v[8:11], v92 offset:832
	ds_read_b128 v[84:87], v92 offset:8736
	;; [unrolled: 1-line block ×19, first 2 shown]
                                        ; implicit-def: $vgpr44_vgpr45
                                        ; implicit-def: $vgpr48_vgpr49
	s_and_saveexec_b32 s0, vcc_lo
	s_cbranch_execz .LBB0_5
; %bb.4:
	ds_read_b128 v[44:47], v92 offset:8320
	ds_read_b128 v[48:51], v92 offset:17056
.LBB0_5:
	s_or_b32 exec_lo, exec_lo, s0
	s_waitcnt lgkmcnt(17)
	v_add_f64 v[84:85], v[0:1], -v[84:85]
	v_add_f64 v[86:87], v[2:3], -v[86:87]
	s_waitcnt lgkmcnt(16)
	v_add_f64 v[80:81], v[8:9], -v[80:81]
	v_add_f64 v[82:83], v[10:11], -v[82:83]
	;; [unrolled: 3-line block ×9, first 2 shown]
	v_add_f64 v[52:53], v[36:37], -v[52:53]
	v_add_f64 v[54:55], v[38:39], -v[54:55]
	;; [unrolled: 1-line block ×4, first 2 shown]
	v_fma_f64 v[48:49], v[0:1], 2.0, -v[84:85]
	v_fma_f64 v[50:51], v[2:3], 2.0, -v[86:87]
	;; [unrolled: 1-line block ×12, first 2 shown]
	v_add_co_u32 v105, null, v152, 52
	v_lshlrev_b32_e32 v93, 1, v152
	v_fma_f64 v[28:29], v[28:29], 2.0, -v[60:61]
	v_fma_f64 v[30:31], v[30:31], 2.0, -v[62:63]
	;; [unrolled: 1-line block ×4, first 2 shown]
	v_add_co_u32 v104, null, 0x68, v152
	v_fma_f64 v[0:1], v[44:45], 2.0, -v[4:5]
	v_lshlrev_b32_e32 v44, 5, v152
	v_lshlrev_b32_e32 v45, 5, v105
	v_add_nc_u32_e32 v76, 0x138, v93
	v_fma_f64 v[36:37], v[36:37], 2.0, -v[52:53]
	v_fma_f64 v[38:39], v[38:39], 2.0, -v[54:55]
	;; [unrolled: 1-line block ×5, first 2 shown]
	s_load_dwordx2 s[2:3], s[4:5], 0x8
	v_add_co_u32 v97, null, 0xd0, v152
	v_add_co_u32 v98, null, 0x104, v152
	s_waitcnt lgkmcnt(0)
	s_barrier
	buffer_gl0_inv
	ds_write_b128 v44, v[48:51]
	ds_write_b128 v44, v[84:87] offset:16
	ds_write_b128 v45, v[8:11]
	v_lshlrev_b32_e32 v9, 5, v104
	v_lshlrev_b32_e32 v8, 4, v76
	v_add_co_u32 v99, null, 0x138, v152
	ds_write_b128 v45, v[80:83] offset:16
	v_lshlrev_b32_e32 v11, 4, v93
	ds_write_b128 v9, v[12:15]
	buffer_store_dword v9, off, s[48:51], 0 offset:580 ; 4-byte Folded Spill
	ds_write_b128 v9, v[88:91] offset:16
	v_lshlrev_b32_e32 v9, 5, v97
	buffer_store_dword v8, off, s[48:51], 0 offset:8 ; 4-byte Folded Spill
	ds_write_b128 v8, v[72:75] offset:16
	v_lshlrev_b32_e32 v8, 5, v98
	v_add_nc_u32_e32 v79, 0x2d8, v93
	v_add_co_u32 v96, null, 0x208, v152
	ds_write_b128 v11, v[16:19] offset:4992
	v_lshlrev_b32_e32 v77, 1, v97
	ds_write_b128 v9, v[20:23]
	buffer_store_dword v9, off, s[48:51], 0 offset:24 ; 4-byte Folded Spill
	ds_write_b128 v9, v[68:71] offset:16
	v_lshlrev_b32_e32 v78, 1, v98
	v_lshlrev_b32_e32 v9, 5, v99
	ds_write_b128 v8, v[24:27]
	buffer_store_dword v8, off, s[48:51], 0 offset:40 ; 4-byte Folded Spill
	ds_write_b128 v8, v[64:67] offset:16
	v_lshlrev_b32_e32 v97, 1, v99
	v_add_nc_u32_e32 v98, 0x340, v93
	v_lshlrev_b32_e32 v8, 4, v79
	v_add_nc_u32_e32 v99, 0x3a8, v93
	buffer_store_dword v44, off, s[48:51], 0 offset:548 ; 4-byte Folded Spill
	buffer_store_dword v105, off, s[48:51], 0 offset:544 ; 4-byte Folded Spill
	v_lshlrev_b32_e32 v105, 1, v105
	buffer_store_dword v45, off, s[48:51], 0 offset:556 ; 4-byte Folded Spill
	buffer_store_dword v104, off, s[48:51], 0 offset:628 ; 4-byte Folded Spill
	v_lshlrev_b32_e32 v104, 1, v104
	ds_write_b128 v9, v[28:31]
	buffer_store_dword v9, off, s[48:51], 0 offset:56 ; 4-byte Folded Spill
	ds_write_b128 v9, v[60:63] offset:16
	ds_write_b128 v11, v[32:35] offset:11648
	v_lshlrev_b32_e32 v10, 4, v98
	buffer_store_dword v8, off, s[48:51], 0 offset:600 ; 4-byte Folded Spill
	ds_write_b128 v8, v[56:59] offset:16
	v_lshlrev_b32_e32 v9, 4, v99
	v_lshlrev_b32_e32 v8, 5, v96
	ds_write_b128 v11, v[36:39] offset:13312
	buffer_store_dword v10, off, s[48:51], 0 offset:604 ; 4-byte Folded Spill
	ds_write_b128 v10, v[52:55] offset:16
	buffer_store_dword v11, off, s[48:51], 0 offset:808 ; 4-byte Folded Spill
	buffer_store_dword v8, off, s[48:51], 0 offset:1092 ; 4-byte Folded Spill
	ds_write_b128 v11, v[40:43] offset:14976
	buffer_store_dword v9, off, s[48:51], 0 offset:596 ; 4-byte Folded Spill
	ds_write_b128 v9, v[100:103] offset:16
	s_and_saveexec_b32 s0, vcc_lo
	s_cbranch_execz .LBB0_7
; %bb.6:
	v_lshlrev_b32_e32 v8, 5, v96
	ds_write_b128 v8, v[0:3]
	ds_write_b128 v8, v[4:7] offset:16
.LBB0_7:
	s_or_b32 exec_lo, exec_lo, s0
	s_waitcnt lgkmcnt(0)
	s_waitcnt_vscnt null, 0x0
	s_barrier
	buffer_gl0_inv
	ds_read_b128 v[8:11], v92
	ds_read_b128 v[20:23], v92 offset:832
	ds_read_b128 v[16:19], v92 offset:8736
	;; [unrolled: 1-line block ×19, first 2 shown]
	s_and_saveexec_b32 s0, vcc_lo
	s_cbranch_execz .LBB0_9
; %bb.8:
	ds_read_b128 v[0:3], v92 offset:8320
	ds_read_b128 v[4:7], v92 offset:17056
.LBB0_9:
	s_or_b32 exec_lo, exec_lo, s0
	v_and_b32_e32 v101, 1, v152
	v_lshlrev_b32_e32 v96, 1, v96
	buffer_store_dword v105, off, s[48:51], 0 offset:792 ; 4-byte Folded Spill
	buffer_store_dword v104, off, s[48:51], 0 offset:776 ; 4-byte Folded Spill
	v_lshlrev_b32_e32 v100, 4, v101
	buffer_store_dword v96, off, s[48:51], 0 offset:564 ; 4-byte Folded Spill
	v_and_or_b32 v93, 0x7c, v93, v101
	v_and_or_b32 v96, 0xfc, v105, v101
	;; [unrolled: 1-line block ×3, first 2 shown]
	global_load_dwordx4 v[128:131], v100, s[2:3]
	v_and_or_b32 v100, 0x1fc, v104, v101
	v_and_or_b32 v77, 0x3fc, v77, v101
	v_and_or_b32 v78, 0x2fc, v78, v101
	v_and_or_b32 v97, 0x2fc, v97, v101
	v_and_or_b32 v79, 0x3fc, v79, v101
	v_and_or_b32 v98, 0x3fc, v98, v101
	buffer_store_dword v101, off, s[48:51], 0 offset:1088 ; 4-byte Folded Spill
	v_and_or_b32 v140, 0x7fc, v99, v101
	v_lshlrev_b32_e32 v148, 4, v93
	v_lshlrev_b32_e32 v147, 4, v96
	;; [unrolled: 1-line block ×9, first 2 shown]
	s_waitcnt vmcnt(0) lgkmcnt(0)
	s_waitcnt_vscnt null, 0x0
	s_barrier
	buffer_gl0_inv
	buffer_store_dword v148, off, s[48:51], 0 offset:736 ; 4-byte Folded Spill
	v_mul_f64 v[76:77], v[18:19], v[130:131]
	v_mul_f64 v[78:79], v[16:17], v[130:131]
	;; [unrolled: 1-line block ×22, first 2 shown]
	v_fma_f64 v[16:17], v[16:17], v[128:129], -v[76:77]
	v_fma_f64 v[18:19], v[18:19], v[128:129], v[78:79]
	v_fma_f64 v[12:13], v[12:13], v[128:129], -v[96:97]
	v_fma_f64 v[14:15], v[14:15], v[128:129], v[98:99]
	;; [unrolled: 2-line block ×11, first 2 shown]
	v_add_f64 v[52:53], v[8:9], -v[16:17]
	v_add_f64 v[54:55], v[10:11], -v[18:19]
	;; [unrolled: 1-line block ×22, first 2 shown]
	v_fma_f64 v[76:77], v[8:9], 2.0, -v[52:53]
	v_fma_f64 v[78:79], v[10:11], 2.0, -v[54:55]
	;; [unrolled: 1-line block ×22, first 2 shown]
	v_lshlrev_b32_e32 v0, 4, v140
	ds_write_b128 v148, v[52:55] offset:32
	ds_write_b128 v148, v[76:79]
	ds_write_b128 v147, v[88:91]
	buffer_store_dword v147, off, s[48:51], 0 offset:716 ; 4-byte Folded Spill
	ds_write_b128 v147, v[56:59] offset:32
	ds_write_b128 v146, v[96:99]
	buffer_store_dword v146, off, s[48:51], 0 offset:680 ; 4-byte Folded Spill
	ds_write_b128 v146, v[60:63] offset:32
	;; [unrolled: 3-line block ×9, first 2 shown]
	s_and_saveexec_b32 s0, vcc_lo
	s_cbranch_execz .LBB0_11
; %bb.10:
	buffer_load_dword v1, off, s[48:51], 0 offset:564 ; 4-byte Folded Reload
	v_and_b32_e32 v0, 1, v152
	s_waitcnt vmcnt(0)
	v_and_or_b32 v0, 0x47c, v1, v0
	v_lshlrev_b32_e32 v0, 4, v0
	ds_write_b128 v0, v[28:31]
	ds_write_b128 v0, v[16:19] offset:32
.LBB0_11:
	s_or_b32 exec_lo, exec_lo, s0
	s_waitcnt lgkmcnt(0)
	s_waitcnt_vscnt null, 0x0
	s_barrier
	buffer_gl0_inv
	ds_read_b128 v[0:3], v92
	ds_read_b128 v[96:99], v92 offset:1344
	ds_read_b128 v[80:83], v92 offset:2688
	;; [unrolled: 1-line block ×12, first 2 shown]
	v_cmp_gt_u16_e64 s0, 32, v152
	buffer_store_dword v152, off, s[48:51], 0 ; 4-byte Folded Spill
                                        ; implicit-def: $vgpr44_vgpr45
                                        ; implicit-def: $vgpr48_vgpr49
                                        ; implicit-def: $vgpr152_vgpr153
                                        ; implicit-def: $vgpr156_vgpr157
	s_and_saveexec_b32 s1, s0
	s_cbranch_execz .LBB0_13
; %bb.12:
	ds_read_b128 v[132:135], v92 offset:832
	ds_read_b128 v[8:11], v92 offset:2176
	ds_read_b128 v[4:7], v92 offset:3520
	ds_read_b128 v[20:23], v92 offset:4864
	ds_read_b128 v[12:15], v92 offset:6208
	ds_read_b128 v[136:139], v92 offset:7552
	ds_read_b128 v[24:27], v92 offset:8896
	ds_read_b128 v[28:31], v92 offset:10240
	ds_read_b128 v[16:19], v92 offset:11584
	ds_read_b128 v[44:47], v92 offset:12928
	ds_read_b128 v[48:51], v92 offset:14272
	ds_read_b128 v[152:155], v92 offset:15616
	ds_read_b128 v[156:159], v92 offset:16960
.LBB0_13:
	s_or_b32 exec_lo, exec_lo, s1
	buffer_load_dword v93, off, s[48:51], 0 ; 4-byte Folded Reload
	s_mov_b32 s30, 0x4267c47c
	s_mov_b32 s28, 0x42a4c3d2
	;; [unrolled: 1-line block ×36, first 2 shown]
	s_waitcnt vmcnt(0)
	v_and_b32_e32 v52, 3, v93
	buffer_store_dword v52, off, s[48:51], 0 offset:4 ; 4-byte Folded Spill
	v_mul_u32_u24_e32 v52, 12, v52
	v_lshlrev_b32_e32 v58, 4, v52
	s_clause 0x3
	global_load_dwordx4 v[108:111], v58, s[2:3] offset:32
	global_load_dwordx4 v[70:73], v58, s[2:3] offset:208
	;; [unrolled: 1-line block ×4, first 2 shown]
	s_waitcnt vmcnt(3) lgkmcnt(11)
	v_mul_f64 v[52:53], v[96:97], v[110:111]
	v_mul_f64 v[54:55], v[98:99], v[110:111]
	s_waitcnt vmcnt(2) lgkmcnt(0)
	v_mul_f64 v[56:57], v[40:41], v[72:73]
	v_fma_f64 v[52:53], v[98:99], v[108:109], v[52:53]
	v_fma_f64 v[54:55], v[96:97], v[108:109], -v[54:55]
	s_clause 0x1
	global_load_dwordx4 v[96:99], v58, s[2:3] offset:64
	global_load_dwordx4 v[124:127], v58, s[2:3] offset:80
	v_fma_f64 v[60:61], v[42:43], v[70:71], v[56:57]
	v_mul_f64 v[42:43], v[42:43], v[72:73]
	v_fma_f64 v[162:163], v[40:41], v[70:71], -v[42:43]
	s_waitcnt vmcnt(3)
	v_mul_f64 v[40:41], v[82:83], v[114:115]
	v_fma_f64 v[164:165], v[80:81], v[112:113], -v[40:41]
	v_mul_f64 v[40:41], v[80:81], v[114:115]
	v_fma_f64 v[166:167], v[82:83], v[112:113], v[40:41]
	s_waitcnt vmcnt(1)
	v_mul_f64 v[40:41], v[38:39], v[98:99]
	v_fma_f64 v[168:169], v[36:37], v[96:97], -v[40:41]
	v_mul_f64 v[36:37], v[36:37], v[98:99]
	v_fma_f64 v[170:171], v[38:39], v[96:97], v[36:37]
	;; [unrolled: 5-line block ×3, first 2 shown]
	s_clause 0x1
	global_load_dwordx4 v[34:37], v58, s[2:3] offset:96
	global_load_dwordx4 v[38:41], v58, s[2:3] offset:112
	s_waitcnt vmcnt(1)
	v_mul_f64 v[32:33], v[122:123], v[36:37]
	v_mov_b32_e32 v77, v37
	v_mov_b32_e32 v76, v36
	;; [unrolled: 1-line block ×4, first 2 shown]
	v_fma_f64 v[180:181], v[120:121], v[34:35], -v[32:33]
	v_mul_f64 v[32:33], v[120:121], v[36:37]
	v_fma_f64 v[182:183], v[122:123], v[34:35], v[32:33]
	s_clause 0x1
	global_load_dwordx4 v[66:69], v58, s[2:3] offset:128
	global_load_dwordx4 v[34:37], v58, s[2:3] offset:144
	s_waitcnt vmcnt(2)
	v_mul_f64 v[32:33], v[118:119], v[40:41]
	v_fma_f64 v[184:185], v[116:117], v[38:39], -v[32:33]
	v_mul_f64 v[32:33], v[116:117], v[40:41]
	v_fma_f64 v[186:187], v[118:119], v[38:39], v[32:33]
	s_clause 0x1
	global_load_dwordx4 v[116:119], v58, s[2:3] offset:160
	global_load_dwordx4 v[100:103], v58, s[2:3] offset:176
	s_waitcnt vmcnt(3)
	v_mul_f64 v[32:33], v[150:151], v[68:69]
	v_fma_f64 v[188:189], v[148:149], v[66:67], -v[32:33]
	v_mul_f64 v[32:33], v[148:149], v[68:69]
	v_add_f64 v[204:205], v[184:185], v[188:189]
	v_fma_f64 v[150:151], v[150:151], v[66:67], v[32:33]
	s_waitcnt vmcnt(2)
	v_mul_f64 v[32:33], v[106:107], v[36:37]
	v_add_f64 v[234:235], v[184:185], -v[188:189]
	v_add_f64 v[232:233], v[186:187], -v[150:151]
	v_fma_f64 v[190:191], v[104:105], v[34:35], -v[32:33]
	v_mul_f64 v[32:33], v[104:105], v[36:37]
	v_add_f64 v[208:209], v[186:187], v[150:151]
	v_add_f64 v[178:179], v[180:181], v[190:191]
	v_fma_f64 v[192:193], v[106:107], v[34:35], v[32:33]
	v_mov_b32_e32 v107, v65
	v_mov_b32_e32 v106, v64
	;; [unrolled: 1-line block ×4, first 2 shown]
	v_add_f64 v[230:231], v[180:181], -v[190:191]
	v_mul_f64 v[32:33], v[84:85], v[106:107]
	v_add_f64 v[228:229], v[182:183], -v[192:193]
	v_add_f64 v[202:203], v[182:183], v[192:193]
	v_fma_f64 v[56:57], v[86:87], v[104:105], v[32:33]
	v_mul_f64 v[32:33], v[86:87], v[106:107]
	v_add_f64 v[212:213], v[166:167], -v[56:57]
	v_fma_f64 v[194:195], v[84:85], v[104:105], -v[32:33]
	s_waitcnt vmcnt(1)
	v_mul_f64 v[32:33], v[146:147], v[118:119]
	v_add_f64 v[214:215], v[164:165], -v[194:195]
	v_fma_f64 v[196:197], v[144:145], v[116:117], -v[32:33]
	v_mul_f64 v[32:33], v[144:145], v[118:119]
	v_add_f64 v[222:223], v[172:173], -v[196:197]
	v_fma_f64 v[58:59], v[146:147], v[116:117], v[32:33]
	s_waitcnt vmcnt(0)
	v_mul_f64 v[32:33], v[142:143], v[102:103]
	v_add_f64 v[220:221], v[174:175], -v[58:59]
	v_fma_f64 v[198:199], v[140:141], v[100:101], -v[32:33]
	v_mul_f64 v[32:33], v[140:141], v[102:103]
	v_add_f64 v[176:177], v[174:175], v[58:59]
	v_add_f64 v[218:219], v[168:169], -v[198:199]
	v_fma_f64 v[200:201], v[142:143], v[100:101], v[32:33]
	v_mul_f64 v[32:33], v[10:11], v[110:111]
	v_add_f64 v[216:217], v[170:171], -v[200:201]
	v_fma_f64 v[142:143], v[8:9], v[108:109], -v[32:33]
	v_mul_f64 v[8:9], v[8:9], v[110:111]
	v_fma_f64 v[42:43], v[10:11], v[108:109], v[8:9]
	v_mul_f64 v[8:9], v[6:7], v[114:115]
	v_fma_f64 v[210:211], v[4:5], v[112:113], -v[8:9]
	v_mul_f64 v[4:5], v[4:5], v[114:115]
	v_fma_f64 v[224:225], v[6:7], v[112:113], v[4:5]
	v_mul_f64 v[4:5], v[22:23], v[98:99]
	;; [unrolled: 4-line block ×4, first 2 shown]
	v_fma_f64 v[248:249], v[136:137], v[74:75], -v[4:5]
	v_mul_f64 v[4:5], v[136:137], v[76:77]
	buffer_store_dword v74, off, s[48:51], 0 offset:1072 ; 4-byte Folded Spill
	buffer_store_dword v75, off, s[48:51], 0 offset:1076 ; 4-byte Folded Spill
	;; [unrolled: 1-line block ×4, first 2 shown]
	v_fma_f64 v[136:137], v[138:139], v[74:75], v[4:5]
	v_mul_f64 v[4:5], v[26:27], v[40:41]
	v_add_f64 v[138:139], v[164:165], v[194:195]
	v_fma_f64 v[244:245], v[24:25], v[38:39], -v[4:5]
	v_mul_f64 v[4:5], v[24:25], v[40:41]
	buffer_store_dword v38, off, s[48:51], 0 offset:496 ; 4-byte Folded Spill
	buffer_store_dword v39, off, s[48:51], 0 offset:500 ; 4-byte Folded Spill
	;; [unrolled: 1-line block ×4, first 2 shown]
	v_add_f64 v[40:41], v[52:53], v[60:61]
	v_fma_f64 v[254:255], v[26:27], v[38:39], v[4:5]
	v_mul_f64 v[4:5], v[30:31], v[68:69]
	v_fma_f64 v[238:239], v[28:29], v[66:67], -v[4:5]
	v_mul_f64 v[4:5], v[28:29], v[68:69]
	buffer_store_dword v66, off, s[48:51], 0 offset:512 ; 4-byte Folded Spill
	buffer_store_dword v67, off, s[48:51], 0 offset:516 ; 4-byte Folded Spill
	;; [unrolled: 1-line block ×4, first 2 shown]
	v_fma_f64 v[252:253], v[30:31], v[66:67], v[4:5]
	v_mul_f64 v[4:5], v[18:19], v[36:37]
	v_fma_f64 v[240:241], v[16:17], v[34:35], -v[4:5]
	v_mul_f64 v[4:5], v[16:17], v[36:37]
	buffer_store_dword v34, off, s[48:51], 0 offset:80 ; 4-byte Folded Spill
	buffer_store_dword v35, off, s[48:51], 0 offset:84 ; 4-byte Folded Spill
	;; [unrolled: 1-line block ×4, first 2 shown]
	v_add_f64 v[16:17], v[54:55], v[162:163]
	v_fma_f64 v[242:243], v[18:19], v[34:35], v[4:5]
	v_mul_f64 v[4:5], v[46:47], v[118:119]
	v_fma_f64 v[144:145], v[44:45], v[116:117], -v[4:5]
	v_mul_f64 v[4:5], v[44:45], v[118:119]
	v_fma_f64 v[160:161], v[46:47], v[116:117], v[4:5]
	v_mul_f64 v[4:5], v[50:51], v[102:103]
	v_fma_f64 v[90:91], v[48:49], v[100:101], -v[4:5]
	v_mul_f64 v[4:5], v[48:49], v[102:103]
	;; [unrolled: 4-line block ×3, first 2 shown]
	v_add_f64 v[152:153], v[166:167], v[56:57]
	v_fma_f64 v[88:89], v[154:155], v[104:105], v[4:5]
	v_mul_f64 v[4:5], v[158:159], v[72:73]
	v_add_f64 v[154:155], v[168:169], v[198:199]
	v_add_f64 v[236:237], v[224:225], -v[88:89]
	v_fma_f64 v[74:75], v[156:157], v[70:71], -v[4:5]
	v_mul_f64 v[4:5], v[156:157], v[72:73]
	buffer_store_dword v70, off, s[48:51], 0 offset:528 ; 4-byte Folded Spill
	buffer_store_dword v71, off, s[48:51], 0 offset:532 ; 4-byte Folded Spill
	;; [unrolled: 1-line block ×4, first 2 shown]
	v_add_f64 v[156:157], v[170:171], v[200:201]
	v_fma_f64 v[76:77], v[158:159], v[70:71], v[4:5]
	v_add_f64 v[4:5], v[52:53], -v[60:61]
	v_add_f64 v[158:159], v[172:173], v[196:197]
	v_mul_f64 v[6:7], v[4:5], s[30:31]
	v_mul_f64 v[8:9], v[4:5], s[28:29]
	;; [unrolled: 1-line block ×6, first 2 shown]
	v_fma_f64 v[18:19], v[16:17], s[12:13], -v[6:7]
	v_fma_f64 v[6:7], v[16:17], s[12:13], v[6:7]
	v_fma_f64 v[20:21], v[16:17], s[18:19], -v[8:9]
	v_fma_f64 v[8:9], v[16:17], s[18:19], v[8:9]
	;; [unrolled: 2-line block ×6, first 2 shown]
	v_add_f64 v[16:17], v[54:55], -v[162:163]
	v_add_f64 v[18:19], v[0:1], v[18:19]
	v_add_f64 v[20:21], v[0:1], v[20:21]
	;; [unrolled: 1-line block ×9, first 2 shown]
	v_mul_f64 v[12:13], v[216:217], s[26:27]
	v_mul_f64 v[30:31], v[16:17], s[30:31]
	;; [unrolled: 1-line block ×10, first 2 shown]
	v_fma_f64 v[44:45], v[40:41], s[12:13], v[30:31]
	v_fma_f64 v[30:31], v[40:41], s[12:13], -v[30:31]
	v_fma_f64 v[46:47], v[40:41], s[18:19], v[32:33]
	v_fma_f64 v[32:33], v[40:41], s[18:19], -v[32:33]
	;; [unrolled: 2-line block ×6, first 2 shown]
	v_add_f64 v[40:41], v[2:3], v[52:53]
	buffer_store_dword v40, off, s[48:51], 0 offset:64 ; 4-byte Folded Spill
	buffer_store_dword v41, off, s[48:51], 0 offset:68 ; 4-byte Folded Spill
	v_add_f64 v[38:39], v[0:1], v[54:55]
	v_add_f64 v[40:41], v[2:3], v[44:45]
	v_add_f64 v[44:45], v[0:1], v[6:7]
	v_add_f64 v[52:53], v[0:1], v[10:11]
	v_add_f64 v[54:55], v[2:3], v[50:51]
	v_add_f64 v[50:51], v[0:1], v[4:5]
	v_mul_f64 v[0:1], v[212:213], s[28:29]
	v_add_f64 v[30:31], v[2:3], v[30:31]
	v_add_f64 v[46:47], v[2:3], v[46:47]
	;; [unrolled: 1-line block ×10, first 2 shown]
	v_mul_f64 v[10:11], v[214:215], s[28:29]
	v_fma_f64 v[6:7], v[154:155], s[4:5], -v[12:13]
	v_mul_f64 v[16:17], v[220:221], s[22:23]
	v_fma_f64 v[12:13], v[154:155], s[4:5], v[12:13]
	v_mul_f64 v[66:67], v[230:231], s[40:41]
	v_add_f64 v[38:39], v[38:39], v[164:165]
	v_fma_f64 v[2:3], v[138:139], s[18:19], -v[0:1]
	v_fma_f64 v[0:1], v[138:139], s[18:19], v[0:1]
	v_fma_f64 v[4:5], v[152:153], s[18:19], v[10:11]
	v_fma_f64 v[10:11], v[152:153], s[18:19], -v[10:11]
	v_add_f64 v[38:39], v[38:39], v[168:169]
	v_add_f64 v[2:3], v[2:3], v[18:19]
	v_mul_f64 v[18:19], v[222:223], s[22:23]
	v_add_f64 v[0:1], v[0:1], v[44:45]
	v_add_f64 v[4:5], v[4:5], v[40:41]
	;; [unrolled: 1-line block ×3, first 2 shown]
	v_mul_f64 v[40:41], v[232:233], s[34:35]
	v_add_f64 v[38:39], v[38:39], v[172:173]
	v_mul_f64 v[172:173], v[236:237], s[34:35]
	v_add_f64 v[2:3], v[6:7], v[2:3]
	v_fma_f64 v[6:7], v[156:157], s[4:5], v[14:15]
	v_add_f64 v[0:1], v[12:13], v[0:1]
	v_fma_f64 v[12:13], v[156:157], s[4:5], -v[14:15]
	v_add_f64 v[38:39], v[38:39], v[180:181]
	v_add_f64 v[4:5], v[6:7], v[4:5]
	v_fma_f64 v[6:7], v[158:159], s[20:21], -v[16:17]
	v_add_f64 v[10:11], v[12:13], v[10:11]
	v_fma_f64 v[12:13], v[158:159], s[20:21], v[16:17]
	v_mul_f64 v[16:17], v[214:215], s[22:23]
	v_add_f64 v[38:39], v[38:39], v[184:185]
	v_add_f64 v[2:3], v[6:7], v[2:3]
	v_fma_f64 v[6:7], v[176:177], s[20:21], v[18:19]
	v_add_f64 v[0:1], v[12:13], v[0:1]
	v_fma_f64 v[12:13], v[176:177], s[20:21], -v[18:19]
	v_mul_f64 v[18:19], v[216:217], s[34:35]
	v_fma_f64 v[14:15], v[152:153], s[20:21], v[16:17]
	v_add_f64 v[38:39], v[38:39], v[188:189]
	v_add_f64 v[4:5], v[6:7], v[4:5]
	v_fma_f64 v[6:7], v[178:179], s[16:17], -v[26:27]
	v_add_f64 v[10:11], v[12:13], v[10:11]
	v_fma_f64 v[12:13], v[178:179], s[16:17], v[26:27]
	v_add_f64 v[14:15], v[14:15], v[46:47]
	v_add_f64 v[38:39], v[38:39], v[190:191]
	;; [unrolled: 1-line block ×3, first 2 shown]
	v_fma_f64 v[6:7], v[202:203], s[16:17], v[28:29]
	v_add_f64 v[0:1], v[12:13], v[0:1]
	v_fma_f64 v[12:13], v[202:203], s[16:17], -v[28:29]
	v_add_f64 v[38:39], v[38:39], v[196:197]
	v_add_f64 v[6:7], v[6:7], v[4:5]
	v_fma_f64 v[4:5], v[204:205], s[14:15], -v[40:41]
	v_add_f64 v[10:11], v[12:13], v[10:11]
	v_fma_f64 v[12:13], v[204:205], s[14:15], v[40:41]
	v_add_f64 v[38:39], v[38:39], v[198:199]
	v_add_f64 v[4:5], v[4:5], v[2:3]
	v_mul_f64 v[2:3], v[234:235], s[34:35]
	v_add_f64 v[0:1], v[12:13], v[0:1]
	v_add_f64 v[38:39], v[38:39], v[194:195]
	v_fma_f64 v[64:65], v[208:209], s[14:15], v[2:3]
	v_fma_f64 v[2:3], v[208:209], s[14:15], -v[2:3]
	v_add_f64 v[6:7], v[64:65], v[6:7]
	v_add_f64 v[2:3], v[2:3], v[10:11]
	v_mul_f64 v[10:11], v[212:213], s[22:23]
	v_fma_f64 v[12:13], v[138:139], s[20:21], -v[10:11]
	v_fma_f64 v[10:11], v[138:139], s[20:21], v[10:11]
	v_add_f64 v[12:13], v[12:13], v[20:21]
	v_fma_f64 v[20:21], v[154:155], s[14:15], -v[18:19]
	v_add_f64 v[8:9], v[10:11], v[8:9]
	v_fma_f64 v[10:11], v[152:153], s[20:21], -v[16:17]
	v_fma_f64 v[16:17], v[154:155], s[14:15], v[18:19]
	v_add_f64 v[12:13], v[20:21], v[12:13]
	v_mul_f64 v[20:21], v[218:219], s[34:35]
	v_add_f64 v[10:11], v[10:11], v[32:33]
	v_add_f64 v[8:9], v[16:17], v[8:9]
	v_fma_f64 v[26:27], v[156:157], s[14:15], v[20:21]
	v_fma_f64 v[16:17], v[156:157], s[14:15], -v[20:21]
	v_mul_f64 v[20:21], v[212:213], s[34:35]
	v_add_f64 v[14:15], v[26:27], v[14:15]
	v_mul_f64 v[26:27], v[220:221], s[38:39]
	v_add_f64 v[10:11], v[16:17], v[10:11]
	v_fma_f64 v[28:29], v[158:159], s[16:17], -v[26:27]
	v_fma_f64 v[16:17], v[158:159], s[16:17], v[26:27]
	v_mul_f64 v[26:27], v[216:217], s[42:43]
	v_add_f64 v[12:13], v[28:29], v[12:13]
	v_mul_f64 v[28:29], v[222:223], s[38:39]
	v_add_f64 v[8:9], v[16:17], v[8:9]
	v_fma_f64 v[30:31], v[176:177], s[16:17], v[28:29]
	v_fma_f64 v[16:17], v[176:177], s[16:17], -v[28:29]
	v_fma_f64 v[28:29], v[154:155], s[20:21], -v[26:27]
	v_fma_f64 v[26:27], v[154:155], s[20:21], v[26:27]
	v_add_f64 v[14:15], v[30:31], v[14:15]
	v_mul_f64 v[30:31], v[228:229], s[36:37]
	v_add_f64 v[10:11], v[16:17], v[10:11]
	v_fma_f64 v[40:41], v[178:179], s[4:5], -v[30:31]
	v_fma_f64 v[16:17], v[178:179], s[4:5], v[30:31]
	v_add_f64 v[12:13], v[40:41], v[12:13]
	v_mul_f64 v[40:41], v[230:231], s[36:37]
	v_add_f64 v[8:9], v[16:17], v[8:9]
	v_fma_f64 v[44:45], v[202:203], s[4:5], v[40:41]
	v_fma_f64 v[16:17], v[202:203], s[4:5], -v[40:41]
	v_add_f64 v[14:15], v[44:45], v[14:15]
	v_mul_f64 v[44:45], v[232:233], s[40:41]
	v_add_f64 v[10:11], v[16:17], v[10:11]
	v_fma_f64 v[46:47], v[204:205], s[12:13], -v[44:45]
	v_fma_f64 v[16:17], v[204:205], s[12:13], v[44:45]
	v_add_f64 v[12:13], v[46:47], v[12:13]
	v_mul_f64 v[46:47], v[234:235], s[40:41]
	v_add_f64 v[8:9], v[16:17], v[8:9]
	v_fma_f64 v[16:17], v[138:139], s[14:15], -v[20:21]
	v_fma_f64 v[20:21], v[138:139], s[14:15], v[20:21]
	v_fma_f64 v[18:19], v[208:209], s[12:13], -v[46:47]
	v_fma_f64 v[64:65], v[208:209], s[12:13], v[46:47]
	v_add_f64 v[16:17], v[16:17], v[22:23]
	v_mul_f64 v[22:23], v[214:215], s[34:35]
	v_add_f64 v[20:21], v[20:21], v[52:53]
	v_add_f64 v[10:11], v[18:19], v[10:11]
	;; [unrolled: 1-line block ×4, first 2 shown]
	v_fma_f64 v[18:19], v[152:153], s[14:15], v[22:23]
	v_mul_f64 v[28:29], v[218:219], s[42:43]
	v_fma_f64 v[22:23], v[152:153], s[14:15], -v[22:23]
	v_add_f64 v[20:21], v[26:27], v[20:21]
	v_add_f64 v[18:19], v[18:19], v[48:49]
	v_fma_f64 v[30:31], v[156:157], s[20:21], v[28:29]
	v_add_f64 v[22:23], v[22:23], v[34:35]
	v_fma_f64 v[26:27], v[156:157], s[20:21], -v[28:29]
	v_add_f64 v[18:19], v[30:31], v[18:19]
	v_mul_f64 v[30:31], v[220:221], s[40:41]
	v_add_f64 v[22:23], v[26:27], v[22:23]
	v_fma_f64 v[32:33], v[158:159], s[12:13], -v[30:31]
	v_fma_f64 v[26:27], v[158:159], s[12:13], v[30:31]
	v_mul_f64 v[30:31], v[214:215], s[38:39]
	v_add_f64 v[16:17], v[32:33], v[16:17]
	v_mul_f64 v[32:33], v[222:223], s[40:41]
	v_add_f64 v[20:21], v[26:27], v[20:21]
	v_fma_f64 v[40:41], v[176:177], s[12:13], v[32:33]
	v_fma_f64 v[26:27], v[176:177], s[12:13], -v[32:33]
	v_mul_f64 v[32:33], v[216:217], s[40:41]
	v_add_f64 v[18:19], v[40:41], v[18:19]
	v_mul_f64 v[40:41], v[228:229], s[28:29]
	v_add_f64 v[22:23], v[26:27], v[22:23]
	v_fma_f64 v[34:35], v[154:155], s[12:13], -v[32:33]
	v_fma_f64 v[32:33], v[154:155], s[12:13], v[32:33]
	v_fma_f64 v[44:45], v[178:179], s[18:19], -v[40:41]
	v_fma_f64 v[26:27], v[178:179], s[18:19], v[40:41]
	v_add_f64 v[16:17], v[44:45], v[16:17]
	v_mul_f64 v[44:45], v[230:231], s[28:29]
	v_add_f64 v[20:21], v[26:27], v[20:21]
	v_fma_f64 v[46:47], v[202:203], s[18:19], v[44:45]
	v_fma_f64 v[26:27], v[202:203], s[18:19], -v[44:45]
	v_add_f64 v[18:19], v[46:47], v[18:19]
	v_mul_f64 v[46:47], v[232:233], s[24:25]
	v_add_f64 v[22:23], v[26:27], v[22:23]
	v_fma_f64 v[48:49], v[204:205], s[16:17], -v[46:47]
	v_fma_f64 v[26:27], v[204:205], s[16:17], v[46:47]
	v_add_f64 v[16:17], v[48:49], v[16:17]
	v_mul_f64 v[48:49], v[234:235], s[24:25]
	v_add_f64 v[20:21], v[26:27], v[20:21]
	v_fma_f64 v[28:29], v[208:209], s[16:17], -v[48:49]
	v_fma_f64 v[64:65], v[208:209], s[16:17], v[48:49]
	;; [unrolled: 5-line block ×3, first 2 shown]
	v_add_f64 v[24:25], v[26:27], v[24:25]
	v_fma_f64 v[26:27], v[152:153], s[16:17], v[30:31]
	v_add_f64 v[28:29], v[28:29], v[68:69]
	v_fma_f64 v[30:31], v[152:153], s[16:17], -v[30:31]
	v_mul_f64 v[68:69], v[232:233], s[22:23]
	v_add_f64 v[24:25], v[34:35], v[24:25]
	v_mul_f64 v[34:35], v[218:219], s[40:41]
	v_add_f64 v[26:27], v[26:27], v[54:55]
	v_add_f64 v[30:31], v[30:31], v[36:37]
	;; [unrolled: 1-line block ×3, first 2 shown]
	v_mul_f64 v[36:37], v[214:215], s[36:37]
	v_fma_f64 v[40:41], v[156:157], s[12:13], v[34:35]
	v_fma_f64 v[32:33], v[156:157], s[12:13], -v[34:35]
	v_add_f64 v[26:27], v[40:41], v[26:27]
	v_mul_f64 v[40:41], v[220:221], s[26:27]
	v_add_f64 v[30:31], v[32:33], v[30:31]
	v_fma_f64 v[44:45], v[158:159], s[4:5], -v[40:41]
	v_fma_f64 v[32:33], v[158:159], s[4:5], v[40:41]
	v_fma_f64 v[40:41], v[152:153], s[4:5], v[36:37]
	v_fma_f64 v[36:37], v[152:153], s[4:5], -v[36:37]
	v_add_f64 v[24:25], v[44:45], v[24:25]
	v_mul_f64 v[44:45], v[222:223], s[26:27]
	v_add_f64 v[28:29], v[32:33], v[28:29]
	v_add_f64 v[40:41], v[40:41], v[62:63]
	v_mul_f64 v[62:63], v[222:223], s[46:47]
	v_add_f64 v[36:37], v[36:37], v[80:81]
	v_fma_f64 v[46:47], v[176:177], s[4:5], v[44:45]
	v_fma_f64 v[32:33], v[176:177], s[4:5], -v[44:45]
	v_mul_f64 v[44:45], v[216:217], s[28:29]
	v_add_f64 v[26:27], v[46:47], v[26:27]
	v_mul_f64 v[46:47], v[228:229], s[46:47]
	v_add_f64 v[30:31], v[32:33], v[30:31]
	v_fma_f64 v[48:49], v[178:179], s[14:15], -v[46:47]
	v_fma_f64 v[32:33], v[178:179], s[14:15], v[46:47]
	v_fma_f64 v[46:47], v[154:155], s[18:19], -v[44:45]
	v_add_f64 v[24:25], v[48:49], v[24:25]
	v_mul_f64 v[48:49], v[230:231], s[46:47]
	v_add_f64 v[28:29], v[32:33], v[28:29]
	v_fma_f64 v[52:53], v[202:203], s[14:15], v[48:49]
	v_fma_f64 v[32:33], v[202:203], s[14:15], -v[48:49]
	v_add_f64 v[26:27], v[52:53], v[26:27]
	v_mul_f64 v[52:53], v[232:233], s[44:45]
	v_add_f64 v[30:31], v[32:33], v[30:31]
	v_fma_f64 v[54:55], v[204:205], s[18:19], -v[52:53]
	v_fma_f64 v[32:33], v[204:205], s[18:19], v[52:53]
	v_mul_f64 v[52:53], v[218:219], s[28:29]
	v_add_f64 v[24:25], v[54:55], v[24:25]
	v_mul_f64 v[54:55], v[234:235], s[44:45]
	v_add_f64 v[28:29], v[32:33], v[28:29]
	v_mul_f64 v[32:33], v[212:213], s[36:37]
	v_fma_f64 v[34:35], v[208:209], s[18:19], -v[54:55]
	v_fma_f64 v[64:65], v[208:209], s[18:19], v[54:55]
	v_mul_f64 v[54:55], v[220:221], s[46:47]
	v_add_f64 v[30:31], v[34:35], v[30:31]
	v_fma_f64 v[34:35], v[138:139], s[4:5], -v[32:33]
	v_add_f64 v[26:27], v[64:65], v[26:27]
	v_mul_f64 v[64:65], v[228:229], s[40:41]
	v_fma_f64 v[32:33], v[138:139], s[4:5], v[32:33]
	v_add_f64 v[34:35], v[34:35], v[70:71]
	v_mul_f64 v[70:71], v[234:235], s[36:37]
	v_add_f64 v[32:33], v[32:33], v[226:227]
	v_add_f64 v[226:227], v[210:211], v[78:79]
	;; [unrolled: 1-line block ×3, first 2 shown]
	v_fma_f64 v[46:47], v[156:157], s[18:19], v[52:53]
	v_add_f64 v[40:41], v[46:47], v[40:41]
	v_fma_f64 v[46:47], v[158:159], s[14:15], -v[54:55]
	v_add_f64 v[34:35], v[46:47], v[34:35]
	v_fma_f64 v[46:47], v[176:177], s[14:15], v[62:63]
	v_add_f64 v[40:41], v[46:47], v[40:41]
	v_fma_f64 v[46:47], v[178:179], s[12:13], -v[64:65]
	v_add_f64 v[34:35], v[46:47], v[34:35]
	;; [unrolled: 4-line block ×3, first 2 shown]
	v_mul_f64 v[34:35], v[234:235], s[22:23]
	v_add_f64 v[234:235], v[206:207], -v[140:141]
	v_fma_f64 v[48:49], v[208:209], s[20:21], v[34:35]
	v_fma_f64 v[34:35], v[208:209], s[20:21], -v[34:35]
	v_mul_f64 v[168:169], v[234:235], s[42:43]
	v_add_f64 v[48:49], v[48:49], v[40:41]
	v_fma_f64 v[40:41], v[154:155], s[18:19], v[44:45]
	v_mul_f64 v[44:45], v[216:217], s[24:25]
	v_add_f64 v[216:217], v[246:247], v[90:91]
	v_add_f64 v[32:33], v[40:41], v[32:33]
	v_fma_f64 v[40:41], v[156:157], s[18:19], -v[52:53]
	v_fma_f64 v[52:53], v[154:155], s[16:17], -v[44:45]
	v_add_f64 v[36:37], v[40:41], v[36:37]
	v_fma_f64 v[40:41], v[158:159], s[14:15], v[54:55]
	v_add_f64 v[32:33], v[40:41], v[32:33]
	v_fma_f64 v[40:41], v[176:177], s[14:15], -v[62:63]
	v_add_f64 v[36:37], v[40:41], v[36:37]
	v_fma_f64 v[40:41], v[178:179], s[12:13], v[64:65]
	v_add_f64 v[32:33], v[40:41], v[32:33]
	;; [unrolled: 4-line block ×3, first 2 shown]
	v_add_f64 v[80:81], v[40:41], v[32:33]
	v_mul_f64 v[32:33], v[212:213], s[40:41]
	v_mul_f64 v[36:37], v[214:215], s[40:41]
	v_fma_f64 v[34:35], v[138:139], s[12:13], -v[32:33]
	v_fma_f64 v[40:41], v[152:153], s[12:13], v[36:37]
	v_fma_f64 v[32:33], v[138:139], s[12:13], v[32:33]
	v_add_f64 v[34:35], v[34:35], v[84:85]
	v_add_f64 v[40:41], v[40:41], v[72:73]
	;; [unrolled: 1-line block ×4, first 2 shown]
	v_mul_f64 v[52:53], v[218:219], s[24:25]
	v_mul_f64 v[218:219], v[234:235], s[26:27]
	v_fma_f64 v[54:55], v[156:157], s[16:17], v[52:53]
	v_add_f64 v[40:41], v[54:55], v[40:41]
	v_mul_f64 v[54:55], v[220:221], s[44:45]
	v_add_f64 v[220:221], v[122:123], -v[160:161]
	v_fma_f64 v[62:63], v[158:159], s[18:19], -v[54:55]
	v_mul_f64 v[190:191], v[220:221], s[40:41]
	v_add_f64 v[34:35], v[62:63], v[34:35]
	v_mul_f64 v[62:63], v[222:223], s[44:45]
	v_fma_f64 v[64:65], v[176:177], s[18:19], v[62:63]
	v_fma_f64 v[50:51], v[176:177], s[18:19], -v[62:63]
	v_add_f64 v[40:41], v[64:65], v[40:41]
	v_mul_f64 v[64:65], v[228:229], s[22:23]
	v_mul_f64 v[228:229], v[236:237], s[28:29]
	v_fma_f64 v[66:67], v[178:179], s[20:21], -v[64:65]
	v_add_f64 v[34:35], v[66:67], v[34:35]
	v_mul_f64 v[66:67], v[230:231], s[22:23]
	v_fma_f64 v[68:69], v[202:203], s[20:21], v[66:67]
	v_add_f64 v[40:41], v[68:69], v[40:41]
	v_mul_f64 v[68:69], v[232:233], s[36:37]
	v_fma_f64 v[72:73], v[204:205], s[4:5], -v[68:69]
	v_add_f64 v[84:85], v[72:73], v[34:35]
	v_fma_f64 v[34:35], v[208:209], s[4:5], v[70:71]
	v_add_f64 v[86:87], v[34:35], v[40:41]
	v_fma_f64 v[34:35], v[152:153], s[12:13], -v[36:37]
	v_fma_f64 v[40:41], v[156:157], s[16:17], -v[52:53]
	v_fma_f64 v[36:37], v[154:155], s[16:17], v[44:45]
	v_fma_f64 v[44:45], v[158:159], s[18:19], v[54:55]
	v_add_f64 v[156:157], v[248:249], v[240:241]
	v_add_f64 v[154:155], v[254:255], -v[252:253]
	v_add_f64 v[158:159], v[38:39], v[162:163]
	v_mul_f64 v[162:163], v[220:221], s[38:39]
	v_add_f64 v[34:35], v[34:35], v[146:147]
	v_add_f64 v[32:33], v[36:37], v[32:33]
	v_fma_f64 v[36:37], v[178:179], s[20:21], v[64:65]
	v_mul_f64 v[164:165], v[154:155], s[44:45]
	v_add_f64 v[34:35], v[40:41], v[34:35]
	v_fma_f64 v[40:41], v[202:203], s[20:21], -v[66:67]
	v_add_f64 v[32:33], v[44:45], v[32:33]
	v_fma_f64 v[44:45], v[204:205], s[4:5], v[68:69]
	v_add_f64 v[34:35], v[50:51], v[34:35]
	v_fma_f64 v[50:51], v[208:209], s[4:5], -v[70:71]
	v_add_f64 v[32:33], v[36:37], v[32:33]
	v_add_f64 v[36:37], v[42:43], -v[76:77]
	v_mul_f64 v[208:209], v[154:155], s[24:25]
	v_add_f64 v[34:35], v[40:41], v[34:35]
	v_fma_f64 v[40:41], v[226:227], s[18:19], v[228:229]
	v_add_f64 v[146:147], v[44:45], v[32:33]
	v_mul_f64 v[250:251], v[36:37], s[30:31]
	v_add_f64 v[148:149], v[50:51], v[34:35]
	v_add_f64 v[34:35], v[142:143], v[74:75]
	buffer_store_dword v74, off, s[48:51], 0 offset:644 ; 4-byte Folded Spill
	buffer_store_dword v75, off, s[48:51], 0 offset:648 ; 4-byte Folded Spill
	;; [unrolled: 1-line block ×24, first 2 shown]
	v_fma_f64 v[32:33], v[34:35], s[12:13], v[250:251]
	v_add_f64 v[32:33], v[132:133], v[32:33]
	v_add_f64 v[32:33], v[40:41], v[32:33]
	v_add_f64 v[142:143], v[142:143], -v[74:75]
	v_add_f64 v[44:45], v[42:43], v[76:77]
	v_mul_f64 v[42:43], v[220:221], s[22:23]
	buffer_store_dword v42, off, s[48:51], 0 offset:1120 ; 4-byte Folded Spill
	buffer_store_dword v43, off, s[48:51], 0 offset:1124 ; 4-byte Folded Spill
	v_add_f64 v[222:223], v[206:207], v[140:141]
	v_add_f64 v[206:207], v[120:121], v[144:145]
	buffer_store_dword v144, off, s[48:51], 0 offset:760 ; 4-byte Folded Spill
	buffer_store_dword v145, off, s[48:51], 0 offset:764 ; 4-byte Folded Spill
	;; [unrolled: 1-line block ×4, first 2 shown]
	v_mul_f64 v[52:53], v[142:143], s[30:31]
	v_add_f64 v[176:177], v[210:211], -v[78:79]
	v_add_f64 v[232:233], v[224:225], v[88:89]
	v_add_f64 v[246:247], v[246:247], -v[90:91]
	buffer_store_dword v160, off, s[48:51], 0 offset:824 ; 4-byte Folded Spill
	buffer_store_dword v161, off, s[48:51], 0 offset:828 ; 4-byte Folded Spill
	v_add_f64 v[210:211], v[136:137], -v[242:243]
	v_mul_f64 v[66:67], v[142:143], s[28:29]
	v_mul_f64 v[76:77], v[36:37], s[26:27]
	;; [unrolled: 1-line block ×4, first 2 shown]
	v_fma_f64 v[40:41], v[44:45], s[12:13], -v[52:53]
	v_mul_f64 v[230:231], v[176:177], s[28:29]
	v_mul_f64 v[72:73], v[176:177], s[36:37]
	;; [unrolled: 1-line block ×7, first 2 shown]
	v_add_f64 v[40:41], v[134:135], v[40:41]
	v_fma_f64 v[50:51], v[232:233], s[18:19], -v[230:231]
	v_add_f64 v[40:41], v[50:51], v[40:41]
	v_fma_f64 v[50:51], v[216:217], s[4:5], v[218:219]
	v_add_f64 v[32:33], v[50:51], v[32:33]
	v_fma_f64 v[50:51], v[222:223], s[4:5], -v[224:225]
	v_add_f64 v[40:41], v[50:51], v[40:41]
	v_fma_f64 v[50:51], v[206:207], s[20:21], v[42:43]
	v_add_f64 v[212:213], v[122:123], v[160:161]
	v_add_f64 v[50:51], v[50:51], v[32:33]
	v_add_f64 v[32:33], v[120:121], -v[144:145]
	v_mul_f64 v[120:121], v[154:155], s[34:35]
	v_mul_f64 v[144:145], v[142:143], s[22:23]
	;; [unrolled: 1-line block ×3, first 2 shown]
	buffer_store_dword v42, off, s[48:51], 0 offset:1136 ; 4-byte Folded Spill
	buffer_store_dword v43, off, s[48:51], 0 offset:1140 ; 4-byte Folded Spill
	v_mul_f64 v[196:197], v[32:33], s[40:41]
	v_fma_f64 v[54:55], v[212:213], s[20:21], -v[42:43]
	v_mul_f64 v[42:43], v[210:211], s[24:25]
	buffer_store_dword v42, off, s[48:51], 0 offset:1104 ; 4-byte Folded Spill
	buffer_store_dword v43, off, s[48:51], 0 offset:1108 ; 4-byte Folded Spill
	buffer_store_dword v240, off, s[48:51], 0 offset:856 ; 4-byte Folded Spill
	buffer_store_dword v241, off, s[48:51], 0 offset:860 ; 4-byte Folded Spill
	buffer_store_dword v248, off, s[48:51], 0 offset:928 ; 4-byte Folded Spill
	buffer_store_dword v249, off, s[48:51], 0 offset:932 ; 4-byte Folded Spill
	buffer_store_dword v242, off, s[48:51], 0 offset:872 ; 4-byte Folded Spill
	buffer_store_dword v243, off, s[48:51], 0 offset:876 ; 4-byte Folded Spill
	buffer_store_dword v136, off, s[48:51], 0 offset:944 ; 4-byte Folded Spill
	buffer_store_dword v137, off, s[48:51], 0 offset:948 ; 4-byte Folded Spill
	v_add_f64 v[40:41], v[54:55], v[40:41]
	v_fma_f64 v[54:55], v[156:157], s[16:17], v[42:43]
	v_add_f64 v[248:249], v[248:249], -v[240:241]
	v_add_f64 v[202:203], v[136:137], v[242:243]
	v_add_f64 v[136:137], v[244:245], v[238:239]
	v_mul_f64 v[240:241], v[176:177], s[22:23]
	v_mul_f64 v[242:243], v[32:33], s[26:27]
	v_add_f64 v[50:51], v[54:55], v[50:51]
	v_mul_f64 v[42:43], v[248:249], s[24:25]
	buffer_store_dword v42, off, s[48:51], 0 offset:1112 ; 4-byte Folded Spill
	buffer_store_dword v43, off, s[48:51], 0 offset:1116 ; 4-byte Folded Spill
	;; [unrolled: 1-line block ×10, first 2 shown]
	v_mul_f64 v[184:185], v[248:249], s[28:29]
	v_mul_f64 v[198:199], v[248:249], s[46:47]
	v_fma_f64 v[54:55], v[202:203], s[16:17], -v[42:43]
	v_add_f64 v[152:153], v[254:255], v[252:253]
	v_mul_f64 v[252:253], v[36:37], s[24:25]
	v_mul_f64 v[254:255], v[142:143], s[24:25]
	v_add_f64 v[54:55], v[54:55], v[40:41]
	v_fma_f64 v[40:41], v[136:137], s[14:15], v[120:121]
	v_add_f64 v[62:63], v[40:41], v[50:51]
	v_add_f64 v[40:41], v[244:245], -v[238:239]
	v_mul_f64 v[238:239], v[236:237], s[22:23]
	v_mul_f64 v[42:43], v[40:41], s[34:35]
	buffer_store_dword v42, off, s[48:51], 0 offset:1096 ; 4-byte Folded Spill
	buffer_store_dword v43, off, s[48:51], 0 offset:1100 ; 4-byte Folded Spill
	v_fma_f64 v[50:51], v[152:153], s[14:15], -v[42:43]
	v_add_f64 v[64:65], v[50:51], v[54:55]
	buffer_store_dword v62, off, s[48:51], 0 offset:144 ; 4-byte Folded Spill
	buffer_store_dword v63, off, s[48:51], 0 offset:148 ; 4-byte Folded Spill
	;; [unrolled: 1-line block ×4, first 2 shown]
	s_clause 0x1
	buffer_load_dword v42, off, s[48:51], 0 offset:64
	buffer_load_dword v43, off, s[48:51], 0 offset:68
	v_mul_f64 v[64:65], v[36:37], s[28:29]
	v_fma_f64 v[50:51], v[232:233], s[20:21], -v[240:241]
	v_fma_f64 v[38:39], v[34:35], s[18:19], v[64:65]
	v_add_f64 v[38:39], v[132:133], v[38:39]
	s_waitcnt vmcnt(0)
	v_add_f64 v[42:43], v[42:43], v[166:167]
	v_mul_f64 v[166:167], v[32:33], s[38:39]
	v_add_f64 v[42:43], v[42:43], v[170:171]
	v_mul_f64 v[170:171], v[246:247], s[42:43]
	;; [unrolled: 2-line block ×6, first 2 shown]
	v_add_f64 v[42:43], v[42:43], v[192:193]
	v_add_f64 v[42:43], v[42:43], v[58:59]
	v_add_f64 v[42:43], v[42:43], v[200:201]
	v_add_f64 v[42:43], v[42:43], v[56:57]
	v_add_f64 v[160:161], v[42:43], v[60:61]
	v_fma_f64 v[42:43], v[226:227], s[20:21], v[238:239]
	v_mul_f64 v[60:61], v[176:177], s[38:39]
	v_add_f64 v[38:39], v[42:43], v[38:39]
	v_fma_f64 v[42:43], v[44:45], s[18:19], -v[66:67]
	v_add_f64 v[42:43], v[134:135], v[42:43]
	v_add_f64 v[42:43], v[50:51], v[42:43]
	v_fma_f64 v[50:51], v[216:217], s[14:15], v[186:187]
	v_add_f64 v[38:39], v[50:51], v[38:39]
	v_fma_f64 v[50:51], v[222:223], s[14:15], -v[188:189]
	v_add_f64 v[42:43], v[50:51], v[42:43]
	v_fma_f64 v[50:51], v[206:207], s[16:17], v[162:163]
	v_add_f64 v[38:39], v[50:51], v[38:39]
	v_fma_f64 v[50:51], v[212:213], s[16:17], -v[166:167]
	v_add_f64 v[42:43], v[50:51], v[42:43]
	v_fma_f64 v[50:51], v[156:157], s[4:5], v[204:205]
	v_add_f64 v[38:39], v[50:51], v[38:39]
	v_mul_f64 v[50:51], v[248:249], s[36:37]
	v_fma_f64 v[54:55], v[202:203], s[4:5], -v[50:51]
	v_add_f64 v[42:43], v[54:55], v[42:43]
	v_mul_f64 v[54:55], v[154:155], s[40:41]
	buffer_store_dword v54, off, s[48:51], 0 offset:1128 ; 4-byte Folded Spill
	buffer_store_dword v55, off, s[48:51], 0 offset:1132 ; 4-byte Folded Spill
	v_fma_f64 v[54:55], v[136:137], s[12:13], v[54:55]
	v_add_f64 v[54:55], v[54:55], v[38:39]
	v_mul_f64 v[38:39], v[40:41], s[40:41]
	buffer_store_dword v38, off, s[48:51], 0 offset:1144 ; 4-byte Folded Spill
	buffer_store_dword v39, off, s[48:51], 0 offset:1148 ; 4-byte Folded Spill
	v_fma_f64 v[38:39], v[152:153], s[12:13], -v[38:39]
	v_add_f64 v[56:57], v[38:39], v[42:43]
	v_fma_f64 v[38:39], v[34:35], s[4:5], v[76:77]
	v_fma_f64 v[42:43], v[226:227], s[14:15], v[172:173]
	buffer_store_dword v54, off, s[48:51], 0 offset:112 ; 4-byte Folded Spill
	buffer_store_dword v55, off, s[48:51], 0 offset:116 ; 4-byte Folded Spill
	;; [unrolled: 1-line block ×4, first 2 shown]
	v_add_f64 v[38:39], v[132:133], v[38:39]
	v_add_f64 v[42:43], v[42:43], v[38:39]
	v_fma_f64 v[38:39], v[44:45], s[4:5], -v[78:79]
	v_add_f64 v[54:55], v[134:135], v[38:39]
	v_mul_f64 v[38:39], v[176:177], s[34:35]
	v_fma_f64 v[56:57], v[232:233], s[14:15], -v[38:39]
	v_add_f64 v[54:55], v[56:57], v[54:55]
	v_fma_f64 v[56:57], v[216:217], s[20:21], v[168:169]
	v_add_f64 v[42:43], v[56:57], v[42:43]
	v_fma_f64 v[56:57], v[222:223], s[20:21], -v[170:171]
	v_add_f64 v[54:55], v[56:57], v[54:55]
	v_fma_f64 v[56:57], v[206:207], s[12:13], v[190:191]
	v_add_f64 v[42:43], v[56:57], v[42:43]
	v_fma_f64 v[56:57], v[212:213], s[12:13], -v[196:197]
	v_add_f64 v[54:55], v[56:57], v[54:55]
	v_fma_f64 v[56:57], v[156:157], s[18:19], v[180:181]
	v_add_f64 v[42:43], v[56:57], v[42:43]
	v_fma_f64 v[56:57], v[202:203], s[18:19], -v[184:185]
	v_add_f64 v[54:55], v[56:57], v[54:55]
	v_fma_f64 v[56:57], v[136:137], s[16:17], v[208:209]
	v_add_f64 v[56:57], v[56:57], v[42:43]
	v_fma_f64 v[42:43], v[152:153], s[16:17], -v[150:151]
	v_add_f64 v[58:59], v[42:43], v[54:55]
	buffer_store_dword v56, off, s[48:51], 0 offset:96 ; 4-byte Folded Spill
	buffer_store_dword v57, off, s[48:51], 0 offset:100 ; 4-byte Folded Spill
	;; [unrolled: 1-line block ×4, first 2 shown]
	v_fma_f64 v[42:43], v[34:35], s[20:21], v[140:141]
	v_mul_f64 v[58:59], v[236:237], s[38:39]
	v_fma_f64 v[56:57], v[232:233], s[16:17], -v[60:61]
	v_add_f64 v[42:43], v[132:133], v[42:43]
	v_fma_f64 v[54:55], v[226:227], s[16:17], v[58:59]
	v_add_f64 v[54:55], v[54:55], v[42:43]
	v_fma_f64 v[42:43], v[44:45], s[20:21], -v[144:145]
	v_add_f64 v[42:43], v[134:135], v[42:43]
	v_add_f64 v[56:57], v[56:57], v[42:43]
	v_mul_f64 v[42:43], v[234:235], s[40:41]
	v_fma_f64 v[62:63], v[216:217], s[12:13], v[42:43]
	v_add_f64 v[54:55], v[62:63], v[54:55]
	v_mul_f64 v[62:63], v[246:247], s[40:41]
	v_fma_f64 v[68:69], v[222:223], s[12:13], -v[62:63]
	v_add_f64 v[56:57], v[68:69], v[56:57]
	v_fma_f64 v[68:69], v[206:207], s[4:5], v[174:175]
	v_add_f64 v[54:55], v[68:69], v[54:55]
	v_fma_f64 v[68:69], v[212:213], s[4:5], -v[242:243]
	v_add_f64 v[56:57], v[68:69], v[56:57]
	v_fma_f64 v[68:69], v[156:157], s[14:15], v[194:195]
	v_add_f64 v[54:55], v[68:69], v[54:55]
	;; [unrolled: 4-line block ×3, first 2 shown]
	v_fma_f64 v[54:55], v[152:153], s[18:19], -v[182:183]
	v_add_f64 v[70:71], v[54:55], v[56:57]
	buffer_store_dword v68, off, s[48:51], 0 offset:128 ; 4-byte Folded Spill
	buffer_store_dword v69, off, s[48:51], 0 offset:132 ; 4-byte Folded Spill
	;; [unrolled: 1-line block ×4, first 2 shown]
	v_fma_f64 v[54:55], v[34:35], s[16:17], v[252:253]
	v_mul_f64 v[68:69], v[236:237], s[36:37]
	v_fma_f64 v[70:71], v[232:233], s[4:5], -v[72:73]
	v_add_f64 v[54:55], v[132:133], v[54:55]
	v_fma_f64 v[56:57], v[226:227], s[4:5], v[68:69]
	v_add_f64 v[54:55], v[56:57], v[54:55]
	v_fma_f64 v[56:57], v[44:45], s[16:17], -v[254:255]
	v_add_f64 v[56:57], v[134:135], v[56:57]
	v_add_f64 v[56:57], v[70:71], v[56:57]
	v_mul_f64 v[70:71], v[234:235], s[28:29]
	v_fma_f64 v[74:75], v[216:217], s[18:19], v[70:71]
	v_add_f64 v[178:179], v[74:75], v[54:55]
	v_mul_f64 v[74:75], v[246:247], s[28:29]
	v_fma_f64 v[54:55], v[222:223], s[18:19], -v[74:75]
	v_add_f64 v[192:193], v[54:55], v[56:57]
	v_mul_f64 v[54:55], v[220:221], s[46:47]
	v_fma_f64 v[56:57], v[206:207], s[14:15], v[54:55]
	v_add_f64 v[200:201], v[56:57], v[178:179]
	v_mul_f64 v[56:57], v[32:33], s[46:47]
	v_fma_f64 v[178:179], v[212:213], s[14:15], -v[56:57]
	;; [unrolled: 6-line block ×4, first 2 shown]
	v_add_f64 v[90:91], v[214:215], v[138:139]
	buffer_store_dword v88, off, s[48:51], 0 offset:64 ; 4-byte Folded Spill
	buffer_store_dword v89, off, s[48:51], 0 offset:68 ; 4-byte Folded Spill
	;; [unrolled: 1-line block ×4, first 2 shown]
	buffer_load_dword v89, off, s[48:51], 0 offset:4 ; 4-byte Folded Reload
	v_lshrrev_b32_e32 v88, 2, v93
	s_waitcnt vmcnt(0)
	s_waitcnt_vscnt null, 0x0
	s_barrier
	buffer_gl0_inv
	v_mul_u32_u24_e32 v88, 52, v88
	v_or_b32_e32 v88, v88, v89
	v_lshlrev_b32_e32 v93, 4, v88
	ds_write_b128 v93, v[158:161]
	ds_write_b128 v93, v[4:7] offset:64
	ds_write_b128 v93, v[12:15] offset:128
	;; [unrolled: 1-line block ×12, first 2 shown]
	buffer_load_dword v0, off, s[48:51], 0 offset:544 ; 4-byte Folded Reload
	s_waitcnt vmcnt(0)
	v_lshrrev_b32_e32 v0, 2, v0
	buffer_store_dword v0, off, s[48:51], 0 offset:544 ; 4-byte Folded Spill
	s_and_saveexec_b32 s1, s0
	s_cbranch_execz .LBB0_15
; %bb.14:
	s_clause 0x5
	buffer_load_dword v28, off, s[48:51], 0 offset:1056
	buffer_load_dword v29, off, s[48:51], 0 offset:1060
	buffer_load_dword v30, off, s[48:51], 0 offset:1040
	buffer_load_dword v31, off, s[48:51], 0 offset:1044
	buffer_load_dword v48, off, s[48:51], 0 offset:1024
	buffer_load_dword v49, off, s[48:51], 0 offset:1028
	v_mul_f64 v[14:15], v[34:35], s[4:5]
	v_mul_f64 v[0:1], v[44:45], s[14:15]
	;; [unrolled: 1-line block ×13, first 2 shown]
	v_add_f64 v[14:15], v[14:15], -v[76:77]
	v_fma_f64 v[2:3], v[142:143], s[46:47], v[0:1]
	v_fma_f64 v[0:1], v[142:143], s[34:35], v[0:1]
	v_add_f64 v[8:9], v[144:145], v[8:9]
	v_add_f64 v[12:13], v[78:79], v[12:13]
	v_mul_f64 v[78:79], v[220:221], s[44:45]
	v_add_f64 v[20:21], v[52:53], v[20:21]
	v_fma_f64 v[46:47], v[176:177], s[30:31], v[44:45]
	v_fma_f64 v[24:25], v[34:35], s[14:15], v[22:23]
	v_fma_f64 v[22:23], v[34:35], s[14:15], -v[22:23]
	v_mul_f64 v[34:35], v[222:223], s[16:17]
	v_fma_f64 v[44:45], v[176:177], s[40:41], v[44:45]
	v_add_f64 v[18:19], v[18:19], -v[64:65]
	v_add_f64 v[16:17], v[66:67], v[16:17]
	v_add_f64 v[6:7], v[6:7], -v[252:253]
	v_add_f64 v[4:5], v[254:255], v[4:5]
	v_add_f64 v[10:11], v[10:11], -v[140:141]
	v_add_f64 v[26:27], v[26:27], -v[250:251]
	v_add_f64 v[14:15], v[132:133], v[14:15]
	v_add_f64 v[2:3], v[134:135], v[2:3]
	;; [unrolled: 1-line block ×5, first 2 shown]
	v_fma_f64 v[80:81], v[206:207], s[18:19], v[78:79]
	v_add_f64 v[20:21], v[134:135], v[20:21]
	v_add_f64 v[24:25], v[132:133], v[24:25]
	;; [unrolled: 1-line block ×3, first 2 shown]
	v_fma_f64 v[36:37], v[246:247], s[38:39], v[34:35]
	v_fma_f64 v[34:35], v[246:247], s[24:25], v[34:35]
	v_add_f64 v[18:19], v[132:133], v[18:19]
	v_add_f64 v[16:17], v[134:135], v[16:17]
	;; [unrolled: 1-line block ×7, first 2 shown]
	v_mul_f64 v[46:47], v[236:237], s[40:41]
	v_add_f64 v[0:1], v[44:45], v[0:1]
	v_mul_f64 v[44:45], v[222:223], s[18:19]
	v_add_f64 v[2:3], v[36:37], v[2:3]
	;; [unrolled: 2-line block ×3, first 2 shown]
	v_add_f64 v[44:45], v[74:75], v[44:45]
	v_mul_f64 v[74:75], v[232:233], s[4:5]
	v_add_f64 v[72:73], v[72:73], v[74:75]
	v_mul_f64 v[74:75], v[216:217], s[18:19]
	v_add_f64 v[4:5], v[72:73], v[4:5]
	v_add_f64 v[70:71], v[74:75], -v[70:71]
	v_mul_f64 v[74:75], v[226:227], s[4:5]
	v_mul_f64 v[72:73], v[232:233], s[18:19]
	v_add_f64 v[4:5], v[44:45], v[4:5]
	v_mul_f64 v[44:45], v[206:207], s[14:15]
	v_add_f64 v[68:69], v[74:75], -v[68:69]
	v_mul_f64 v[74:75], v[222:223], s[12:13]
	v_add_f64 v[72:73], v[230:231], v[72:73]
	v_add_f64 v[44:45], v[44:45], -v[54:55]
	v_add_f64 v[6:7], v[68:69], v[6:7]
	v_add_f64 v[62:63], v[62:63], v[74:75]
	;; [unrolled: 1-line block ×3, first 2 shown]
	v_mul_f64 v[54:55], v[206:207], s[4:5]
	v_mul_f64 v[74:75], v[226:227], s[18:19]
	v_mul_f64 v[72:73], v[216:217], s[4:5]
	v_add_f64 v[6:7], v[70:71], v[6:7]
	v_mul_f64 v[70:71], v[152:153], s[12:13]
	v_add_f64 v[54:55], v[54:55], -v[174:175]
	v_add_f64 v[74:75], v[74:75], -v[228:229]
	;; [unrolled: 1-line block ×3, first 2 shown]
	v_add_f64 v[6:7], v[44:45], v[6:7]
	v_mul_f64 v[44:45], v[136:137], s[18:19]
	v_add_f64 v[26:27], v[74:75], v[26:27]
	v_mul_f64 v[74:75], v[152:153], s[14:15]
	;; [unrolled: 2-line block ×3, first 2 shown]
	s_waitcnt vmcnt(4)
	v_add_f64 v[28:29], v[134:135], v[28:29]
	s_waitcnt vmcnt(2)
	v_add_f64 v[30:31], v[132:133], v[30:31]
	;; [unrolled: 2-line block ×3, first 2 shown]
	s_clause 0x3
	buffer_load_dword v48, off, s[48:51], 0 offset:1008
	buffer_load_dword v49, off, s[48:51], 0 offset:1012
	;; [unrolled: 1-line block ×4, first 2 shown]
	s_waitcnt vmcnt(2)
	v_add_f64 v[30:31], v[30:31], v[48:49]
	s_waitcnt vmcnt(0)
	v_add_f64 v[28:29], v[28:29], v[76:77]
	s_clause 0x1
	buffer_load_dword v76, off, s[48:51], 0 offset:976
	buffer_load_dword v77, off, s[48:51], 0 offset:980
	v_mul_f64 v[48:49], v[212:213], s[18:19]
	v_add_f64 v[28:29], v[28:29], v[122:123]
	v_fma_f64 v[52:53], v[32:33], s[28:29], v[48:49]
	v_fma_f64 v[32:33], v[32:33], s[44:45], v[48:49]
	v_mul_f64 v[48:49], v[152:153], s[4:5]
	v_add_f64 v[2:3], v[52:53], v[2:3]
	v_add_f64 v[0:1], v[32:33], v[0:1]
	v_fma_f64 v[64:65], v[40:41], s[26:27], v[48:49]
	v_fma_f64 v[40:41], v[40:41], s[36:37], v[48:49]
	v_mul_f64 v[48:49], v[202:203], s[20:21]
	v_mul_f64 v[52:53], v[216:217], s[14:15]
	v_fma_f64 v[66:67], v[248:249], s[42:43], v[48:49]
	v_fma_f64 v[48:49], v[248:249], s[22:23], v[48:49]
	v_add_f64 v[52:53], v[52:53], -v[186:187]
	v_add_f64 v[2:3], v[66:67], v[2:3]
	v_add_f64 v[48:49], v[48:49], v[0:1]
	;; [unrolled: 1-line block ×3, first 2 shown]
	s_waitcnt vmcnt(0)
	v_add_f64 v[30:31], v[30:31], v[76:77]
	v_fma_f64 v[76:77], v[226:227], s[12:13], v[46:47]
	v_fma_f64 v[46:47], v[226:227], s[12:13], -v[46:47]
	v_add_f64 v[24:25], v[76:77], v[24:25]
	v_add_f64 v[22:23], v[46:47], v[22:23]
	s_clause 0x3
	buffer_load_dword v46, off, s[48:51], 0 offset:960
	buffer_load_dword v47, off, s[48:51], 0 offset:964
	;; [unrolled: 1-line block ×4, first 2 shown]
	v_mul_f64 v[76:77], v[226:227], s[14:15]
	v_add_f64 v[76:77], v[76:77], -v[172:173]
	v_add_f64 v[14:15], v[76:77], v[14:15]
	v_mul_f64 v[76:77], v[136:137], s[14:15]
	s_waitcnt vmcnt(2)
	v_add_f64 v[30:31], v[30:31], v[46:47]
	s_waitcnt vmcnt(0)
	v_add_f64 v[28:29], v[28:29], v[34:35]
	s_clause 0x1
	buffer_load_dword v34, off, s[48:51], 0 offset:928
	buffer_load_dword v35, off, s[48:51], 0 offset:932
	v_fma_f64 v[46:47], v[216:217], s[16:17], v[36:37]
	v_add_f64 v[24:25], v[46:47], v[24:25]
	v_mul_f64 v[46:47], v[226:227], s[16:17]
	v_add_f64 v[24:25], v[80:81], v[24:25]
	v_add_f64 v[46:47], v[46:47], -v[58:59]
	v_mul_f64 v[58:59], v[232:233], s[14:15]
	v_add_f64 v[10:11], v[46:47], v[10:11]
	v_add_f64 v[38:39], v[38:39], v[58:59]
	v_mul_f64 v[58:59], v[232:233], s[20:21]
	v_mul_f64 v[46:47], v[212:213], s[4:5]
	v_add_f64 v[12:13], v[38:39], v[12:13]
	v_add_f64 v[58:59], v[240:241], v[58:59]
	v_mul_f64 v[38:39], v[216:217], s[20:21]
	v_add_f64 v[46:47], v[242:243], v[46:47]
	v_add_f64 v[16:17], v[58:59], v[16:17]
	v_mul_f64 v[58:59], v[222:223], s[4:5]
	v_add_f64 v[38:39], v[38:39], -v[168:169]
	v_add_f64 v[58:59], v[224:225], v[58:59]
	v_add_f64 v[14:15], v[38:39], v[14:15]
	v_mul_f64 v[38:39], v[210:211], s[22:23]
	v_add_f64 v[20:21], v[58:59], v[20:21]
	v_mul_f64 v[58:59], v[206:207], s[20:21]
	s_waitcnt vmcnt(0)
	v_add_f64 v[30:31], v[30:31], v[34:35]
	v_mul_f64 v[34:35], v[232:233], s[16:17]
	v_add_f64 v[34:35], v[60:61], v[34:35]
	v_mul_f64 v[60:61], v[226:227], s[20:21]
	v_add_f64 v[8:9], v[34:35], v[8:9]
	v_fma_f64 v[34:35], v[216:217], s[16:17], -v[36:37]
	v_add_f64 v[60:61], v[60:61], -v[238:239]
	v_mul_f64 v[36:37], v[222:223], s[20:21]
	v_add_f64 v[8:9], v[62:63], v[8:9]
	v_add_f64 v[22:23], v[34:35], v[22:23]
	s_clause 0x1
	buffer_load_dword v34, off, s[48:51], 0 offset:912
	buffer_load_dword v35, off, s[48:51], 0 offset:916
	v_add_f64 v[18:19], v[60:61], v[18:19]
	v_fma_f64 v[60:61], v[206:207], s[18:19], -v[78:79]
	v_mul_f64 v[62:63], v[212:213], s[20:21]
	v_add_f64 v[36:37], v[170:171], v[36:37]
	v_add_f64 v[8:9], v[46:47], v[8:9]
	v_mul_f64 v[46:47], v[156:157], s[14:15]
	v_add_f64 v[18:19], v[52:53], v[18:19]
	v_add_f64 v[22:23], v[60:61], v[22:23]
	v_fma_f64 v[52:53], v[156:157], s[20:21], v[38:39]
	v_add_f64 v[12:13], v[36:37], v[12:13]
	v_mul_f64 v[36:37], v[206:207], s[12:13]
	v_fma_f64 v[38:39], v[156:157], s[20:21], -v[38:39]
	v_add_f64 v[46:47], v[46:47], -v[194:195]
	v_add_f64 v[24:25], v[52:53], v[24:25]
	v_mul_f64 v[52:53], v[202:203], s[18:19]
	v_add_f64 v[36:37], v[36:37], -v[190:191]
	v_add_f64 v[38:39], v[38:39], v[22:23]
	v_add_f64 v[52:53], v[184:185], v[52:53]
	;; [unrolled: 1-line block ×3, first 2 shown]
	v_mul_f64 v[36:37], v[152:153], s[18:19]
	v_add_f64 v[36:37], v[182:183], v[36:37]
	s_waitcnt vmcnt(0)
	v_add_f64 v[28:29], v[28:29], v[34:35]
	s_clause 0x3
	buffer_load_dword v34, off, s[48:51], 0 offset:880
	buffer_load_dword v35, off, s[48:51], 0 offset:884
	;; [unrolled: 1-line block ×4, first 2 shown]
	s_waitcnt vmcnt(2)
	v_add_f64 v[30:31], v[30:31], v[34:35]
	s_waitcnt vmcnt(0)
	v_add_f64 v[28:29], v[28:29], v[32:33]
	s_clause 0x3
	buffer_load_dword v32, off, s[48:51], 0 offset:840
	buffer_load_dword v33, off, s[48:51], 0 offset:844
	;; [unrolled: 1-line block ×4, first 2 shown]
	v_mul_f64 v[34:35], v[216:217], s[12:13]
	v_add_f64 v[34:35], v[34:35], -v[42:43]
	v_mul_f64 v[42:43], v[222:223], s[14:15]
	v_add_f64 v[10:11], v[34:35], v[10:11]
	v_add_f64 v[42:43], v[188:189], v[42:43]
	v_mul_f64 v[34:35], v[202:203], s[14:15]
	v_add_f64 v[10:11], v[54:55], v[10:11]
	v_add_f64 v[16:17], v[42:43], v[16:17]
	v_add_f64 v[34:35], v[198:199], v[34:35]
	v_mul_f64 v[54:55], v[152:153], s[16:17]
	v_mul_f64 v[42:43], v[206:207], s[16:17]
	v_add_f64 v[46:47], v[46:47], v[10:11]
	v_add_f64 v[8:9], v[34:35], v[8:9]
	v_add_f64 v[34:35], v[44:45], -v[164:165]
	v_add_f64 v[44:45], v[150:151], v[54:55]
	v_add_f64 v[42:43], v[42:43], -v[162:163]
	v_add_f64 v[18:19], v[42:43], v[18:19]
	v_mul_f64 v[42:43], v[136:137], s[20:21]
	v_add_f64 v[42:43], v[42:43], -v[192:193]
	s_waitcnt vmcnt(2)
	v_add_f64 v[30:31], v[30:31], v[32:33]
	s_waitcnt vmcnt(0)
	v_add_f64 v[28:29], v[28:29], v[60:61]
	s_clause 0x3
	buffer_load_dword v60, off, s[48:51], 0 offset:856
	buffer_load_dword v61, off, s[48:51], 0 offset:860
	;; [unrolled: 1-line block ×4, first 2 shown]
	v_mul_f64 v[32:33], v[212:213], s[14:15]
	v_add_f64 v[32:33], v[56:57], v[32:33]
	v_mul_f64 v[56:57], v[212:213], s[12:13]
	v_add_f64 v[4:5], v[32:33], v[4:5]
	v_add_f64 v[56:57], v[196:197], v[56:57]
	v_mul_f64 v[32:33], v[156:157], s[12:13]
	v_add_f64 v[12:13], v[56:57], v[12:13]
	v_add_f64 v[32:33], v[32:33], -v[178:179]
	v_mul_f64 v[56:57], v[156:157], s[18:19]
	v_add_f64 v[12:13], v[52:53], v[12:13]
	v_add_f64 v[32:33], v[32:33], v[6:7]
	v_add_f64 v[56:57], v[56:57], -v[180:181]
	v_add_f64 v[6:7], v[40:41], v[48:49]
	v_add_f64 v[56:57], v[56:57], v[14:15]
	;; [unrolled: 1-line block ×4, first 2 shown]
	s_waitcnt vmcnt(2)
	v_add_f64 v[30:31], v[30:31], v[60:61]
	s_waitcnt vmcnt(0)
	v_add_f64 v[62:63], v[66:67], v[62:63]
	s_clause 0x3
	buffer_load_dword v66, off, s[48:51], 0 offset:1120
	buffer_load_dword v67, off, s[48:51], 0 offset:1124
	;; [unrolled: 1-line block ×4, first 2 shown]
	v_mul_f64 v[60:61], v[212:213], s[16:17]
	v_add_f64 v[20:21], v[62:63], v[20:21]
	v_mul_f64 v[62:63], v[156:157], s[16:17]
	v_add_f64 v[60:61], v[166:167], v[60:61]
	v_add_f64 v[16:17], v[60:61], v[16:17]
	v_mul_f64 v[60:61], v[156:157], s[4:5]
	v_add_f64 v[60:61], v[60:61], -v[204:205]
	v_add_f64 v[60:61], v[60:61], v[18:19]
	v_add_f64 v[18:19], v[44:45], v[12:13]
	;; [unrolled: 1-line block ×3, first 2 shown]
	s_waitcnt vmcnt(2)
	v_add_f64 v[58:59], v[58:59], -v[66:67]
	s_waitcnt vmcnt(0)
	v_add_f64 v[0:1], v[28:29], v[0:1]
	s_clause 0x3
	buffer_load_dword v28, off, s[48:51], 0 offset:760
	buffer_load_dword v29, off, s[48:51], 0 offset:764
	;; [unrolled: 1-line block ×4, first 2 shown]
	v_mul_f64 v[66:67], v[202:203], s[4:5]
	v_add_f64 v[26:27], v[58:59], v[26:27]
	v_mul_f64 v[58:59], v[152:153], s[20:21]
	v_add_f64 v[50:51], v[50:51], v[66:67]
	v_mul_f64 v[66:67], v[202:203], s[16:17]
	v_add_f64 v[58:59], v[200:201], v[58:59]
	v_add_f64 v[16:17], v[50:51], v[16:17]
	s_waitcnt vmcnt(2)
	v_add_f64 v[28:29], v[30:31], v[28:29]
	s_waitcnt vmcnt(0)
	v_add_f64 v[66:67], v[68:69], v[66:67]
	s_clause 0x1
	buffer_load_dword v68, off, s[48:51], 0 offset:1104
	buffer_load_dword v69, off, s[48:51], 0 offset:1108
	v_mul_f64 v[30:31], v[202:203], s[12:13]
	v_add_f64 v[20:21], v[66:67], v[20:21]
	v_add_f64 v[66:67], v[76:77], -v[120:121]
	v_add_f64 v[30:31], v[244:245], v[30:31]
	v_add_f64 v[4:5], v[30:31], v[4:5]
	v_mul_f64 v[30:31], v[136:137], s[16:17]
	v_add_f64 v[10:11], v[58:59], v[4:5]
	s_waitcnt vmcnt(0)
	v_add_f64 v[62:63], v[62:63], -v[68:69]
	s_clause 0x1
	buffer_load_dword v68, off, s[48:51], 0 offset:744
	buffer_load_dword v69, off, s[48:51], 0 offset:748
	v_add_f64 v[62:63], v[62:63], v[26:27]
	s_waitcnt vmcnt(0)
	v_add_f64 v[0:1], v[0:1], v[68:69]
	s_clause 0x1
	buffer_load_dword v68, off, s[48:51], 0 offset:720
	buffer_load_dword v69, off, s[48:51], 0 offset:724
	s_waitcnt vmcnt(0)
	v_add_f64 v[28:29], v[28:29], v[68:69]
	v_mul_f64 v[68:69], v[154:155], s[36:37]
	v_fma_f64 v[52:53], v[136:137], s[4:5], v[68:69]
	v_fma_f64 v[54:55], v[136:137], s[4:5], -v[68:69]
	v_add_f64 v[68:69], v[30:31], -v[208:209]
	s_clause 0x3
	buffer_load_dword v30, off, s[48:51], 0 offset:1144
	buffer_load_dword v31, off, s[48:51], 0 offset:1148
	;; [unrolled: 1-line block ×4, first 2 shown]
	s_waitcnt vmcnt(2)
	v_add_f64 v[30:31], v[30:31], v[70:71]
	s_waitcnt vmcnt(0)
	v_add_f64 v[50:51], v[72:73], -v[50:51]
	s_clause 0x3
	buffer_load_dword v70, off, s[48:51], 0 offset:1096
	buffer_load_dword v71, off, s[48:51], 0 offset:1100
	;; [unrolled: 1-line block ×4, first 2 shown]
	v_add_f64 v[22:23], v[30:31], v[16:17]
	v_add_f64 v[16:17], v[68:69], v[56:57]
	s_waitcnt vmcnt(2)
	v_add_f64 v[70:71], v[70:71], v[74:75]
	s_waitcnt vmcnt(0)
	v_add_f64 v[72:73], v[0:1], v[72:73]
	s_clause 0x3
	buffer_load_dword v0, off, s[48:51], 0 offset:684
	buffer_load_dword v1, off, s[48:51], 0 offset:688
	;; [unrolled: 1-line block ×4, first 2 shown]
	v_add_f64 v[26:27], v[70:71], v[20:21]
	v_add_f64 v[20:21], v[50:51], v[60:61]
	s_waitcnt vmcnt(2)
	v_add_f64 v[28:29], v[28:29], v[0:1]
	s_waitcnt vmcnt(0)
	v_add_f64 v[30:31], v[72:73], v[4:5]
	s_clause 0x3
	buffer_load_dword v4, off, s[48:51], 0 offset:644
	buffer_load_dword v5, off, s[48:51], 0 offset:648
	;; [unrolled: 1-line block ×4, first 2 shown]
	v_add_f64 v[0:1], v[52:53], v[24:25]
	v_add_f64 v[24:25], v[66:67], v[62:63]
	s_waitcnt vmcnt(2)
	v_add_f64 v[28:29], v[28:29], v[4:5]
	v_add_f64 v[4:5], v[54:55], v[38:39]
	s_waitcnt vmcnt(1)
	v_mul_u32_u24_e32 v32, 52, v32
	s_waitcnt vmcnt(0)
	v_or_b32_e32 v32, v32, v33
	v_lshlrev_b32_e32 v32, 4, v32
	ds_write_b128 v32, v[28:31]
	ds_write_b128 v32, v[24:27] offset:64
	ds_write_b128 v32, v[20:23] offset:128
	;; [unrolled: 1-line block ×7, first 2 shown]
	s_clause 0x3
	buffer_load_dword v0, off, s[48:51], 0 offset:64
	buffer_load_dword v1, off, s[48:51], 0 offset:68
	buffer_load_dword v2, off, s[48:51], 0 offset:72
	buffer_load_dword v3, off, s[48:51], 0 offset:76
	s_waitcnt vmcnt(0)
	ds_write_b128 v32, v[0:3] offset:512
	s_clause 0x3
	buffer_load_dword v0, off, s[48:51], 0 offset:128
	buffer_load_dword v1, off, s[48:51], 0 offset:132
	buffer_load_dword v2, off, s[48:51], 0 offset:136
	buffer_load_dword v3, off, s[48:51], 0 offset:140
	s_waitcnt vmcnt(0)
	ds_write_b128 v32, v[0:3] offset:576
	;; [unrolled: 7-line block ×5, first 2 shown]
.LBB0_15:
	s_or_b32 exec_lo, exec_lo, s1
	buffer_load_dword v0, off, s[48:51], 0  ; 4-byte Folded Reload
	s_waitcnt vmcnt(0) lgkmcnt(0)
	s_waitcnt_vscnt null, 0x0
	s_barrier
	buffer_gl0_inv
	s_mov_b32 s4, 0xaaaaaaaa
	s_mov_b32 s5, 0xbff2aaaa
	;; [unrolled: 1-line block ×20, first 2 shown]
	v_mad_u64_u32 v[0:1], null, 0x60, v0, s[2:3]
	s_clause 0x5
	global_load_dwordx4 v[144:147], v[0:1], off offset:800
	global_load_dwordx4 v[136:139], v[0:1], off offset:816
	;; [unrolled: 1-line block ×6, first 2 shown]
	buffer_load_dword v1, off, s[48:51], 0 offset:628 ; 4-byte Folded Reload
	s_waitcnt vmcnt(0)
	v_and_b32_e32 v0, 0xff, v1
	v_mul_lo_u16 v0, 0x4f, v0
	v_lshrrev_b16 v0, 12, v0
	v_mul_lo_u16 v0, v0, 52
	v_sub_nc_u16 v0, v1, v0
	v_and_b32_e32 v26, 0xff, v0
	v_mad_u64_u32 v[24:25], null, 0x60, v26, s[2:3]
	v_lshlrev_b32_e32 v26, 4, v26
	s_clause 0x1
	global_load_dwordx4 v[156:159], v[24:25], off offset:800
	global_load_dwordx4 v[152:155], v[24:25], off offset:816
	ds_read_b128 v[20:23], v92 offset:2496
	ds_read_b128 v[8:11], v92 offset:4992
	;; [unrolled: 1-line block ×14, first 2 shown]
	s_waitcnt lgkmcnt(13)
	v_mul_f64 v[61:62], v[20:21], v[146:147]
	v_mul_f64 v[59:60], v[22:23], v[146:147]
	s_waitcnt lgkmcnt(12)
	v_mul_f64 v[63:64], v[10:11], v[138:139]
	v_mul_f64 v[65:66], v[8:9], v[138:139]
	s_waitcnt lgkmcnt(11)
	v_mul_f64 v[67:68], v[18:19], v[134:135]
	s_waitcnt lgkmcnt(10)
	v_mul_f64 v[71:72], v[6:7], v[87:88]
	v_mul_f64 v[73:74], v[4:5], v[87:88]
	;; [unrolled: 1-line block ×3, first 2 shown]
	s_waitcnt lgkmcnt(8)
	v_mul_f64 v[75:76], v[14:15], v[150:151]
	v_mul_f64 v[77:78], v[12:13], v[150:151]
	;; [unrolled: 1-line block ×3, first 2 shown]
	s_waitcnt lgkmcnt(5)
	v_mul_f64 v[81:82], v[35:36], v[138:139]
	s_waitcnt lgkmcnt(3)
	v_mul_f64 v[83:84], v[45:46], v[87:88]
	v_fma_f64 v[22:23], v[22:23], v[144:145], v[61:62]
	v_mul_f64 v[61:62], v[33:34], v[146:147]
	v_fma_f64 v[20:21], v[20:21], v[144:145], -v[59:60]
	v_fma_f64 v[63:64], v[8:9], v[136:137], -v[63:64]
	v_fma_f64 v[65:66], v[10:11], v[136:137], v[65:66]
	ds_read_b128 v[8:11], v92 offset:8320
	v_fma_f64 v[16:17], v[16:17], v[132:133], -v[67:68]
	v_mul_f64 v[67:68], v[31:32], v[146:147]
	v_fma_f64 v[71:72], v[4:5], v[85:86], -v[71:72]
	v_fma_f64 v[73:74], v[6:7], v[85:86], v[73:74]
	ds_read_b128 v[4:7], v92 offset:9152
	v_fma_f64 v[18:19], v[18:19], v[132:133], v[69:70]
	v_mul_f64 v[69:70], v[37:38], v[138:139]
	v_mul_f64 v[59:60], v[0:1], v[142:143]
	v_fma_f64 v[12:13], v[12:13], v[148:149], -v[75:76]
	v_fma_f64 v[14:15], v[14:15], v[148:149], v[77:78]
	v_fma_f64 v[77:78], v[0:1], v[140:141], -v[79:80]
	v_fma_f64 v[31:32], v[31:32], v[144:145], -v[61:62]
	buffer_store_dword v144, off, s[48:51], 0 offset:700 ; 4-byte Folded Spill
	buffer_store_dword v145, off, s[48:51], 0 offset:704 ; 4-byte Folded Spill
	;; [unrolled: 1-line block ×4, first 2 shown]
	s_waitcnt lgkmcnt(1)
	v_mul_f64 v[75:76], v[10:11], v[134:135]
	v_mul_f64 v[79:80], v[8:9], v[134:135]
	;; [unrolled: 1-line block ×3, first 2 shown]
	v_fma_f64 v[43:44], v[43:44], v[85:86], -v[83:84]
	v_add_f64 v[166:167], v[18:19], v[73:74]
	v_fma_f64 v[35:36], v[35:36], v[136:137], -v[69:70]
	buffer_store_dword v136, off, s[48:51], 0 offset:664 ; 4-byte Folded Spill
	buffer_store_dword v137, off, s[48:51], 0 offset:668 ; 4-byte Folded Spill
	;; [unrolled: 1-line block ×4, first 2 shown]
	v_fma_f64 v[59:60], v[2:3], v[140:141], v[59:60]
	ds_read_b128 v[0:3], v92 offset:13312
	v_add_f64 v[164:165], v[65:66], v[14:15]
	v_add_f64 v[162:163], v[22:23], v[59:60]
	v_fma_f64 v[33:34], v[33:34], v[144:145], v[67:68]
	v_fma_f64 v[67:68], v[8:9], v[132:133], -v[75:76]
	buffer_store_dword v132, off, s[48:51], 0 offset:644 ; 4-byte Folded Spill
	buffer_store_dword v133, off, s[48:51], 0 offset:648 ; 4-byte Folded Spill
	;; [unrolled: 1-line block ×4, first 2 shown]
	s_waitcnt lgkmcnt(0)
	v_mul_f64 v[75:76], v[2:3], v[150:151]
	v_fma_f64 v[37:38], v[37:38], v[136:137], v[81:82]
	v_add_f64 v[174:175], v[67:68], v[43:44]
	v_fma_f64 v[75:76], v[0:1], v[148:149], -v[75:76]
	v_add_f64 v[172:173], v[35:36], v[75:76]
	v_add_f64 v[35:36], v[35:36], -v[75:76]
	v_fma_f64 v[69:70], v[10:11], v[132:133], v[79:80]
	ds_read_b128 v[8:11], v92 offset:14144
	buffer_store_dword v85, off, s[48:51], 0 offset:628 ; 4-byte Folded Spill
	buffer_store_dword v86, off, s[48:51], 0 offset:632 ; 4-byte Folded Spill
	;; [unrolled: 1-line block ×4, first 2 shown]
	v_mul_f64 v[79:80], v[49:50], v[142:143]
	v_fma_f64 v[45:46], v[45:46], v[85:86], v[61:62]
	v_mul_f64 v[61:62], v[0:1], v[150:151]
	buffer_store_dword v148, off, s[48:51], 0 offset:720 ; 4-byte Folded Spill
	buffer_store_dword v149, off, s[48:51], 0 offset:724 ; 4-byte Folded Spill
	;; [unrolled: 1-line block ×4, first 2 shown]
	v_mul_f64 v[0:1], v[47:48], v[142:143]
	v_fma_f64 v[47:48], v[47:48], v[140:141], -v[79:80]
	buffer_store_dword v140, off, s[48:51], 0 offset:684 ; 4-byte Folded Spill
	buffer_store_dword v141, off, s[48:51], 0 offset:688 ; 4-byte Folded Spill
	;; [unrolled: 1-line block ×4, first 2 shown]
	s_waitcnt vmcnt(0)
	v_mul_f64 v[79:80], v[41:42], v[154:155]
	v_add_f64 v[182:183], v[69:70], v[45:46]
	v_add_f64 v[170:171], v[31:32], v[47:48]
	v_fma_f64 v[79:80], v[39:40], v[152:153], -v[79:80]
	v_fma_f64 v[61:62], v[2:3], v[148:149], v[61:62]
	v_mul_f64 v[2:3], v[51:52], v[158:159]
	v_fma_f64 v[49:50], v[49:50], v[140:141], v[0:1]
	v_mul_f64 v[0:1], v[53:54], v[158:159]
	v_add_f64 v[180:181], v[37:38], v[61:62]
	v_add_f64 v[178:179], v[33:34], v[49:50]
	v_fma_f64 v[81:82], v[51:52], v[156:157], -v[0:1]
	buffer_store_dword v156, off, s[48:51], 0 offset:760 ; 4-byte Folded Spill
	buffer_store_dword v157, off, s[48:51], 0 offset:764 ; 4-byte Folded Spill
	;; [unrolled: 1-line block ×4, first 2 shown]
	v_mul_f64 v[0:1], v[39:40], v[154:155]
	buffer_store_dword v152, off, s[48:51], 0 offset:744 ; 4-byte Folded Spill
	buffer_store_dword v153, off, s[48:51], 0 offset:748 ; 4-byte Folded Spill
	;; [unrolled: 1-line block ×4, first 2 shown]
	v_fma_f64 v[83:84], v[53:54], v[156:157], v[2:3]
	v_fma_f64 v[85:86], v[41:42], v[152:153], v[0:1]
	s_clause 0x1
	global_load_dwordx4 v[51:54], v[24:25], off offset:832
	global_load_dwordx4 v[39:42], v[24:25], off offset:848
	s_waitcnt vmcnt(1)
	v_mul_f64 v[0:1], v[6:7], v[53:54]
	v_fma_f64 v[156:157], v[4:5], v[51:52], -v[0:1]
	v_mul_f64 v[0:1], v[4:5], v[53:54]
	buffer_store_dword v51, off, s[48:51], 0 offset:928 ; 4-byte Folded Spill
	buffer_store_dword v52, off, s[48:51], 0 offset:932 ; 4-byte Folded Spill
	;; [unrolled: 1-line block ×4, first 2 shown]
	v_fma_f64 v[158:159], v[6:7], v[51:52], v[0:1]
	s_waitcnt vmcnt(0)
	v_mul_f64 v[0:1], v[57:58], v[41:42]
	v_add_f64 v[51:52], v[16:17], v[71:72]
	v_fma_f64 v[160:161], v[55:56], v[39:40], -v[0:1]
	v_mul_f64 v[0:1], v[55:56], v[41:42]
	buffer_store_dword v39, off, s[48:51], 0 offset:912 ; 4-byte Folded Spill
	buffer_store_dword v40, off, s[48:51], 0 offset:916 ; 4-byte Folded Spill
	;; [unrolled: 1-line block ×4, first 2 shown]
	s_clause 0x1
	global_load_dwordx4 v[2:5], v[24:25], off offset:864
	global_load_dwordx4 v[87:90], v[24:25], off offset:880
	v_add_f64 v[41:42], v[63:64], v[12:13]
	v_add_f64 v[194:195], v[156:157], v[160:161]
	v_fma_f64 v[55:56], v[57:58], v[39:40], v[0:1]
	v_add_f64 v[39:40], v[20:21], v[77:78]
	s_waitcnt vmcnt(1) lgkmcnt(0)
	v_mul_f64 v[0:1], v[10:11], v[4:5]
	v_add_f64 v[202:203], v[158:159], v[55:56]
	v_fma_f64 v[24:25], v[8:9], v[2:3], -v[0:1]
	v_mul_f64 v[0:1], v[8:9], v[4:5]
	buffer_store_dword v2, off, s[48:51], 0 offset:896 ; 4-byte Folded Spill
	buffer_store_dword v3, off, s[48:51], 0 offset:900 ; 4-byte Folded Spill
	;; [unrolled: 1-line block ×4, first 2 shown]
	v_add_f64 v[8:9], v[172:173], v[170:171]
	v_add_f64 v[192:193], v[79:80], v[24:25]
	;; [unrolled: 1-line block ×5, first 2 shown]
	v_fma_f64 v[57:58], v[10:11], v[2:3], v[0:1]
	v_add_f64 v[0:1], v[41:42], v[39:40]
	v_add_f64 v[200:201], v[85:86], v[57:58]
	;; [unrolled: 1-line block ×5, first 2 shown]
	ds_read_b128 v[0:3], v92
	ds_read_b128 v[4:7], v92 offset:832
	ds_read_b128 v[8:11], v92 offset:16640
	s_waitcnt lgkmcnt(2)
	v_add_f64 v[0:1], v[0:1], v[53:54]
	s_waitcnt lgkmcnt(1)
	v_add_f64 v[4:5], v[4:5], v[176:177]
	s_waitcnt vmcnt(0) lgkmcnt(0)
	v_mul_f64 v[186:187], v[10:11], v[89:90]
	v_add_f64 v[6:7], v[6:7], v[184:185]
	v_add_f64 v[2:3], v[2:3], v[168:169]
	v_fma_f64 v[53:54], v[53:54], s[4:5], v[0:1]
	v_fma_f64 v[176:177], v[176:177], s[4:5], v[4:5]
	v_fma_f64 v[186:187], v[8:9], v[87:88], -v[186:187]
	v_mul_f64 v[8:9], v[8:9], v[89:90]
	buffer_store_dword v87, off, s[48:51], 0 offset:880 ; 4-byte Folded Spill
	buffer_store_dword v88, off, s[48:51], 0 offset:884 ; 4-byte Folded Spill
	;; [unrolled: 1-line block ×4, first 2 shown]
	s_waitcnt_vscnt null, 0x0
	s_barrier
	buffer_gl0_inv
	ds_write_b128 v92, v[4:7] offset:5824
	v_add_f64 v[4:5], v[63:64], -v[12:13]
	v_add_f64 v[12:13], v[71:72], -v[16:17]
	v_fma_f64 v[184:185], v[184:185], s[4:5], v[6:7]
	v_add_f64 v[16:17], v[20:21], -v[77:78]
	v_add_f64 v[6:7], v[65:66], -v[14:15]
	;; [unrolled: 1-line block ×6, first 2 shown]
	ds_write_b128 v92, v[0:3]
	v_add_f64 v[39:40], v[39:40], -v[51:52]
	v_add_f64 v[51:52], v[162:163], -v[166:167]
	v_fma_f64 v[168:169], v[168:169], s[4:5], v[2:3]
	v_add_f64 v[190:191], v[81:82], v[186:187]
	v_add_f64 v[41:42], v[4:5], -v[16:17]
	v_add_f64 v[59:60], v[14:15], -v[6:7]
	;; [unrolled: 1-line block ×3, first 2 shown]
	v_mul_f64 v[39:40], v[39:40], s[22:23]
	v_add_f64 v[0:1], v[192:193], v[190:191]
	v_mul_f64 v[59:60], v[59:60], s[20:21]
	v_add_f64 v[196:197], v[194:195], v[0:1]
	v_fma_f64 v[188:189], v[10:11], v[87:88], v[8:9]
	v_add_f64 v[10:11], v[12:13], -v[4:5]
	v_add_f64 v[8:9], v[12:13], v[4:5]
	v_add_f64 v[4:5], v[14:15], v[6:7]
	;; [unrolled: 1-line block ×3, first 2 shown]
	v_mul_f64 v[73:74], v[10:11], s[20:21]
	v_add_f64 v[65:66], v[8:9], v[16:17]
	v_add_f64 v[71:72], v[4:5], v[18:19]
	v_mul_f64 v[4:5], v[22:23], s[14:15]
	v_fma_f64 v[22:23], v[22:23], s[14:15], v[39:40]
	v_add_f64 v[0:1], v[200:201], v[198:199]
	v_fma_f64 v[8:9], v[41:42], s[18:19], -v[73:74]
	v_fma_f64 v[4:5], v[20:21], s[16:17], -v[4:5]
	v_add_f64 v[204:205], v[202:203], v[0:1]
	v_fma_f64 v[10:11], v[65:66], s[12:13], v[8:9]
	v_fma_f64 v[8:9], v[63:64], s[18:19], -v[59:60]
	v_add_f64 v[0:1], v[27:28], v[196:197]
	v_add_f64 v[77:78], v[4:5], v[53:54]
	v_add_f64 v[27:28], v[164:165], -v[162:163]
	v_add_f64 v[162:163], v[18:19], -v[14:15]
	v_mul_f64 v[14:15], v[63:64], s[18:19]
	v_add_f64 v[2:3], v[29:30], v[204:205]
	v_add_f64 v[29:30], v[166:167], -v[164:165]
	v_fma_f64 v[8:9], v[71:72], s[12:13], v[8:9]
	v_fma_f64 v[14:15], v[162:163], s[28:29], -v[14:15]
	v_mul_f64 v[6:7], v[29:30], s[14:15]
	v_add_f64 v[4:5], v[77:78], -v[8:9]
	v_add_f64 v[8:9], v[8:9], v[77:78]
	v_add_f64 v[77:78], v[16:17], -v[12:13]
	v_mul_f64 v[12:13], v[41:42], s[18:19]
	v_mul_f64 v[41:42], v[51:52], s[22:23]
	v_fma_f64 v[16:17], v[20:21], s[24:25], -v[39:40]
	v_add_f64 v[51:52], v[180:181], -v[178:179]
	v_fma_f64 v[6:7], v[27:28], s[16:17], -v[6:7]
	v_fma_f64 v[12:13], v[77:78], s[28:29], -v[12:13]
	;; [unrolled: 1-line block ×3, first 2 shown]
	v_fma_f64 v[27:28], v[71:72], s[12:13], v[14:15]
	v_add_f64 v[16:17], v[16:17], v[53:54]
	v_fma_f64 v[29:30], v[29:30], s[14:15], v[41:42]
	v_add_f64 v[41:42], v[22:23], v[53:54]
	v_add_f64 v[53:54], v[182:183], -v[180:181]
	v_add_f64 v[164:165], v[6:7], v[168:169]
	v_fma_f64 v[20:21], v[65:66], s[12:13], v[12:13]
	v_add_f64 v[18:19], v[18:19], v[168:169]
	v_add_f64 v[12:13], v[27:28], v[16:17]
	v_add_f64 v[16:17], v[16:17], -v[27:28]
	v_fma_f64 v[27:28], v[162:163], s[26:27], v[59:60]
	v_add_f64 v[29:30], v[29:30], v[168:169]
	v_add_f64 v[6:7], v[10:11], v[164:165]
	v_add_f64 v[10:11], v[164:165], -v[10:11]
	v_add_f64 v[14:15], v[18:19], -v[20:21]
	v_add_f64 v[18:19], v[20:21], v[18:19]
	v_fma_f64 v[20:21], v[77:78], s[26:27], v[73:74]
	v_fma_f64 v[27:28], v[71:72], s[12:13], v[27:28]
	;; [unrolled: 1-line block ×3, first 2 shown]
	v_add_f64 v[20:21], v[27:28], v[41:42]
	v_add_f64 v[27:28], v[41:42], -v[27:28]
	v_add_f64 v[41:42], v[31:32], -v[47:48]
	v_add_f64 v[31:32], v[37:38], -v[61:62]
	v_add_f64 v[47:48], v[172:173], -v[170:171]
	v_add_f64 v[22:23], v[29:30], -v[39:40]
	v_add_f64 v[29:30], v[39:40], v[29:30]
	v_add_f64 v[39:40], v[43:44], -v[67:68]
	v_add_f64 v[43:44], v[45:46], -v[69:70]
	;; [unrolled: 1-line block ×5, first 2 shown]
	ds_write_b128 v92, v[20:23] offset:832
	ds_write_b128 v92, v[12:15] offset:1664
	ds_write_b128 v92, v[4:7] offset:2496
	v_add_f64 v[4:5], v[79:80], -v[24:25]
	v_add_f64 v[33:34], v[39:40], v[35:36]
	v_add_f64 v[37:38], v[39:40], -v[35:36]
	v_add_f64 v[35:36], v[43:44], v[31:32]
	v_add_f64 v[61:62], v[43:44], -v[31:32]
	v_add_f64 v[63:64], v[31:32], -v[45:46]
	v_mul_f64 v[31:32], v[49:50], s[14:15]
	v_add_f64 v[75:76], v[41:42], -v[39:40]
	v_mul_f64 v[39:40], v[59:60], s[18:19]
	v_add_f64 v[77:78], v[45:46], -v[43:44]
	v_add_f64 v[6:7], v[160:161], -v[156:157]
	;; [unrolled: 1-line block ×9, first 2 shown]
	ds_write_b128 v92, v[8:11] offset:3328
	v_add_f64 v[65:66], v[33:34], v[41:42]
	v_mul_f64 v[69:70], v[37:38], s[20:21]
	v_mul_f64 v[33:34], v[53:54], s[14:15]
	v_add_f64 v[67:68], v[35:36], v[45:46]
	v_mul_f64 v[61:62], v[61:62], s[20:21]
	v_fma_f64 v[31:32], v[47:48], s[16:17], -v[31:32]
	v_mul_f64 v[41:42], v[63:64], s[18:19]
	v_fma_f64 v[39:40], v[75:76], s[28:29], -v[39:40]
	;; [unrolled: 2-line block ×3, first 2 shown]
	v_fma_f64 v[33:34], v[51:52], s[16:17], -v[33:34]
	v_add_f64 v[71:72], v[31:32], v[176:177]
	v_fma_f64 v[41:42], v[77:78], s[28:29], -v[41:42]
	v_fma_f64 v[37:38], v[65:66], s[12:13], v[35:36]
	v_fma_f64 v[35:36], v[63:64], s[18:19], -v[61:62]
	v_add_f64 v[73:74], v[33:34], v[184:185]
	v_fma_f64 v[35:36], v[67:68], s[12:13], v[35:36]
	v_add_f64 v[33:34], v[37:38], v[73:74]
	v_add_f64 v[37:38], v[73:74], -v[37:38]
	v_add_f64 v[73:74], v[178:179], -v[182:183]
	v_add_f64 v[31:32], v[71:72], -v[35:36]
	v_add_f64 v[35:36], v[35:36], v[71:72]
	v_add_f64 v[71:72], v[170:171], -v[174:175]
	v_mul_f64 v[63:64], v[73:74], s[22:23]
	v_mul_f64 v[59:60], v[71:72], s[22:23]
	v_fma_f64 v[45:46], v[51:52], s[24:25], -v[63:64]
	v_fma_f64 v[51:52], v[67:68], s[12:13], v[41:42]
	v_fma_f64 v[53:54], v[53:54], s[14:15], v[63:64]
	v_add_f64 v[63:64], v[202:203], -v[200:201]
	v_fma_f64 v[43:44], v[47:48], s[24:25], -v[59:60]
	v_fma_f64 v[47:48], v[65:66], s[12:13], v[39:40]
	v_add_f64 v[45:46], v[45:46], v[184:185]
	v_fma_f64 v[49:50], v[49:50], s[14:15], v[59:60]
	v_add_f64 v[53:54], v[53:54], v[184:185]
	v_add_f64 v[43:44], v[43:44], v[176:177]
	v_add_f64 v[41:42], v[45:46], -v[47:48]
	v_add_f64 v[45:46], v[47:48], v[45:46]
	v_fma_f64 v[47:48], v[75:76], s[26:27], v[69:70]
	v_add_f64 v[69:70], v[22:23], -v[20:21]
	v_add_f64 v[39:40], v[51:52], v[43:44]
	v_add_f64 v[43:44], v[43:44], -v[51:52]
	v_fma_f64 v[51:52], v[77:78], s[26:27], v[61:62]
	v_add_f64 v[61:62], v[49:50], v[176:177]
	v_fma_f64 v[59:60], v[65:66], s[12:13], v[47:48]
	v_add_f64 v[65:66], v[6:7], v[4:5]
	v_fma_f64 v[51:52], v[67:68], s[12:13], v[51:52]
	v_add_f64 v[67:68], v[6:7], -v[4:5]
	v_add_f64 v[6:7], v[12:13], -v[6:7]
	v_add_f64 v[4:5], v[4:5], -v[12:13]
	v_add_f64 v[12:13], v[65:66], v[12:13]
	v_add_f64 v[65:66], v[22:23], v[20:21]
	v_add_f64 v[22:23], v[14:15], -v[22:23]
	v_add_f64 v[20:21], v[20:21], -v[14:15]
	;; [unrolled: 1-line block ×3, first 2 shown]
	v_add_f64 v[53:54], v[59:60], v[53:54]
	v_add_f64 v[59:60], v[200:201], -v[198:199]
	v_add_f64 v[47:48], v[51:52], v[61:62]
	v_add_f64 v[51:52], v[61:62], -v[51:52]
	v_add_f64 v[61:62], v[198:199], -v[202:203]
	v_add_f64 v[14:15], v[65:66], v[14:15]
	v_mul_f64 v[65:66], v[67:68], s[20:21]
	v_mul_f64 v[67:68], v[4:5], s[18:19]
	v_fma_f64 v[4:5], v[4:5], s[18:19], -v[65:66]
	v_fma_f64 v[65:66], v[6:7], s[26:27], v[65:66]
	v_fma_f64 v[6:7], v[6:7], s[28:29], -v[67:68]
	v_mul_f64 v[67:68], v[69:70], s[20:21]
	v_mul_f64 v[69:70], v[20:21], s[18:19]
	v_fma_f64 v[65:66], v[12:13], s[12:13], v[65:66]
	v_fma_f64 v[71:72], v[12:13], s[12:13], v[6:7]
	v_fma_f64 v[20:21], v[20:21], s[18:19], -v[67:68]
	v_fma_f64 v[67:68], v[22:23], s[26:27], v[67:68]
	v_fma_f64 v[22:23], v[22:23], s[28:29], -v[69:70]
	v_mul_f64 v[69:70], v[57:58], s[14:15]
	v_fma_f64 v[57:58], v[57:58], s[14:15], v[55:56]
	v_fma_f64 v[67:68], v[14:15], s[12:13], v[67:68]
	v_fma_f64 v[69:70], v[24:25], s[16:17], -v[69:70]
	v_fma_f64 v[24:25], v[24:25], s[24:25], -v[55:56]
	v_mul_f64 v[55:56], v[61:62], s[22:23]
	v_mul_f64 v[61:62], v[63:64], s[14:15]
	v_fma_f64 v[63:64], v[63:64], s[14:15], v[55:56]
	v_fma_f64 v[61:62], v[59:60], s[16:17], -v[61:62]
	v_fma_f64 v[55:56], v[59:60], s[24:25], -v[55:56]
	v_fma_f64 v[59:60], v[12:13], s[12:13], v[4:5]
	v_fma_f64 v[4:5], v[196:197], s[4:5], v[0:1]
	;; [unrolled: 1-line block ×4, first 2 shown]
	v_add_f64 v[73:74], v[57:58], v[4:5]
	v_add_f64 v[22:23], v[24:25], v[4:5]
	;; [unrolled: 1-line block ×3, first 2 shown]
	v_fma_f64 v[4:5], v[204:205], s[4:5], v[2:3]
	s_mov_b32 s5, 0xbfebb67a
	v_add_f64 v[8:9], v[12:13], v[14:15]
	v_add_f64 v[24:25], v[61:62], v[4:5]
	;; [unrolled: 1-line block ×4, first 2 shown]
	v_add_f64 v[4:5], v[14:15], -v[12:13]
	v_add_f64 v[12:13], v[20:21], v[22:23]
	v_add_f64 v[20:21], v[22:23], -v[20:21]
	v_add_f64 v[6:7], v[59:60], v[24:25]
	v_add_f64 v[10:11], v[24:25], -v[59:60]
	buffer_load_dword v24, off, s[48:51], 0 offset:808 ; 4-byte Folded Reload
	v_add_f64 v[57:58], v[61:62], -v[65:66]
	v_add_f64 v[59:60], v[73:74], -v[67:68]
	v_add_f64 v[61:62], v[65:66], v[61:62]
	v_add_f64 v[14:15], v[55:56], -v[71:72]
	v_add_f64 v[22:23], v[71:72], v[55:56]
	v_add_f64 v[55:56], v[67:68], v[73:74]
	s_waitcnt vmcnt(0)
	v_add_co_u32 v63, s1, s2, v24
	buffer_load_dword v24, off, s[48:51], 0 offset:792 ; 4-byte Folded Reload
	v_add_co_ci_u32_e64 v64, null, s3, 0, s1
	ds_write_b128 v92, v[16:19] offset:4160
	ds_write_b128 v92, v[27:30] offset:4992
	;; [unrolled: 1-line block ×14, first 2 shown]
	buffer_store_dword v26, off, s[48:51], 0 offset:872 ; 4-byte Folded Spill
	ds_write_b128 v26, v[59:62] offset:16640
	s_waitcnt vmcnt(0) lgkmcnt(0)
	s_waitcnt_vscnt null, 0x0
	s_barrier
	buffer_gl0_inv
	v_lshlrev_b32_e32 v65, 4, v24
	v_add_co_u32 v24, s1, 0x16a0, v63
	v_add_co_ci_u32_e64 v25, s1, 0, v64, s1
	v_add_co_u32 v63, s1, 0x1000, v63
	v_add_co_ci_u32_e64 v64, s1, 0, v64, s1
	v_add_co_u32 v65, s1, s2, v65
	v_add_co_ci_u32_e64 v66, null, s3, 0, s1
	global_load_dwordx4 v[38:41], v[63:64], off offset:1696
	v_add_co_u32 v0, s1, 0x1000, v65
	v_add_co_ci_u32_e64 v1, s1, 0, v66, s1
	s_clause 0x1
	global_load_dwordx4 v[54:57], v[24:25], off offset:16
	global_load_dwordx4 v[50:53], v[0:1], off offset:1696
	buffer_load_dword v0, off, s[48:51], 0 offset:776 ; 4-byte Folded Reload
	s_waitcnt vmcnt(0)
	v_lshlrev_b32_e32 v0, 4, v0
	v_add_co_u32 v4, s1, s2, v0
	v_add_co_ci_u32_e64 v5, null, s3, 0, s1
	v_add_co_u32 v0, s1, 0x16a0, v65
	v_add_co_ci_u32_e64 v1, s1, 0, v66, s1
	v_add_co_u32 v2, s1, 0x1000, v4
	v_add_co_ci_u32_e64 v3, s1, 0, v5, s1
	s_clause 0x1
	global_load_dwordx4 v[62:65], v[0:1], off offset:16
	global_load_dwordx4 v[58:61], v[2:3], off offset:1696
	v_add_co_u32 v0, s1, 0x16a0, v4
	v_add_co_ci_u32_e64 v1, s1, 0, v5, s1
	global_load_dwordx4 v[46:49], v[0:1], off offset:16
	ds_read_b128 v[0:3], v92 offset:5824
	ds_read_b128 v[4:7], v92 offset:11648
	;; [unrolled: 1-line block ×6, first 2 shown]
	buffer_load_dword v36, off, s[48:51], 0 offset:8 ; 4-byte Folded Reload
	s_waitcnt lgkmcnt(5)
	v_mul_f64 v[24:25], v[2:3], v[40:41]
	v_mul_f64 v[26:27], v[0:1], v[40:41]
	s_waitcnt lgkmcnt(4)
	v_mul_f64 v[28:29], v[6:7], v[56:57]
	s_waitcnt lgkmcnt(3)
	v_mul_f64 v[32:33], v[10:11], v[52:53]
	v_mul_f64 v[30:31], v[4:5], v[56:57]
	;; [unrolled: 1-line block ×3, first 2 shown]
	v_fma_f64 v[24:25], v[0:1], v[38:39], -v[24:25]
	v_fma_f64 v[28:29], v[4:5], v[54:55], -v[28:29]
	;; [unrolled: 1-line block ×3, first 2 shown]
	s_waitcnt vmcnt(2) lgkmcnt(0)
	v_mul_f64 v[42:43], v[20:21], v[60:61]
	s_waitcnt vmcnt(0)
	v_add_co_u32 v44, s1, s2, v36
	v_add_co_ci_u32_e64 v45, null, s3, 0, s1
	v_add_co_u32 v36, s1, 0x1000, v44
	v_add_co_ci_u32_e64 v37, s1, 0, v45, s1
	global_load_dwordx4 v[66:69], v[36:37], off offset:1696
	buffer_store_dword v38, off, s[48:51], 0 offset:792 ; 4-byte Folded Spill
	buffer_store_dword v39, off, s[48:51], 0 offset:796 ; 4-byte Folded Spill
	buffer_store_dword v40, off, s[48:51], 0 offset:800 ; 4-byte Folded Spill
	buffer_store_dword v41, off, s[48:51], 0 offset:804 ; 4-byte Folded Spill
	buffer_store_dword v54, off, s[48:51], 0 offset:824 ; 4-byte Folded Spill
	buffer_store_dword v55, off, s[48:51], 0 offset:828 ; 4-byte Folded Spill
	buffer_store_dword v56, off, s[48:51], 0 offset:832 ; 4-byte Folded Spill
	buffer_store_dword v57, off, s[48:51], 0 offset:836 ; 4-byte Folded Spill
	buffer_store_dword v50, off, s[48:51], 0 offset:808 ; 4-byte Folded Spill
	buffer_store_dword v51, off, s[48:51], 0 offset:812 ; 4-byte Folded Spill
	buffer_store_dword v52, off, s[48:51], 0 offset:816 ; 4-byte Folded Spill
	buffer_store_dword v53, off, s[48:51], 0 offset:820 ; 4-byte Folded Spill
	v_mul_f64 v[36:37], v[18:19], v[64:65]
	v_mul_f64 v[40:41], v[22:23], v[60:61]
	v_fma_f64 v[36:37], v[16:17], v[62:63], -v[36:37]
	v_fma_f64 v[40:41], v[20:21], v[58:59], -v[40:41]
	v_fma_f64 v[26:27], v[2:3], v[38:39], v[26:27]
	ds_read_b128 v[0:3], v92 offset:13312
	v_mul_f64 v[38:39], v[16:17], v[64:65]
	v_add_co_u32 v16, s1, 0x16a0, v44
	buffer_store_dword v62, off, s[48:51], 0 offset:856 ; 4-byte Folded Spill
	buffer_store_dword v63, off, s[48:51], 0 offset:860 ; 4-byte Folded Spill
	;; [unrolled: 1-line block ×4, first 2 shown]
	v_fma_f64 v[30:31], v[6:7], v[54:55], v[30:31]
	v_fma_f64 v[34:35], v[10:11], v[50:51], v[34:35]
	ds_read_b128 v[4:7], v92 offset:14144
	buffer_store_dword v58, off, s[48:51], 0 offset:840 ; 4-byte Folded Spill
	buffer_store_dword v59, off, s[48:51], 0 offset:844 ; 4-byte Folded Spill
	;; [unrolled: 1-line block ×4, first 2 shown]
	v_add_co_ci_u32_e64 v17, s1, 0, v45, s1
	s_waitcnt lgkmcnt(1)
	v_mul_f64 v[8:9], v[2:3], v[48:49]
	v_mul_f64 v[10:11], v[0:1], v[48:49]
	v_fma_f64 v[44:45], v[0:1], v[46:47], -v[8:9]
	buffer_store_dword v46, off, s[48:51], 0 offset:776 ; 4-byte Folded Spill
	buffer_store_dword v47, off, s[48:51], 0 offset:780 ; 4-byte Folded Spill
	;; [unrolled: 1-line block ×4, first 2 shown]
	v_fma_f64 v[38:39], v[18:19], v[62:63], v[38:39]
	global_load_dwordx4 v[18:21], v[16:17], off offset:16
	v_fma_f64 v[42:43], v[22:23], v[58:59], v[42:43]
	v_fma_f64 v[46:47], v[2:3], v[46:47], v[10:11]
	ds_read_b128 v[0:3], v92 offset:8320
	ds_read_b128 v[8:11], v92 offset:9152
	s_waitcnt vmcnt(1) lgkmcnt(1)
	v_mul_f64 v[16:17], v[2:3], v[68:69]
	v_fma_f64 v[48:49], v[0:1], v[66:67], -v[16:17]
	v_mul_f64 v[0:1], v[0:1], v[68:69]
	buffer_store_dword v66, off, s[48:51], 0 offset:1056 ; 4-byte Folded Spill
	buffer_store_dword v67, off, s[48:51], 0 offset:1060 ; 4-byte Folded Spill
	;; [unrolled: 1-line block ×4, first 2 shown]
	v_fma_f64 v[50:51], v[2:3], v[66:67], v[0:1]
	s_waitcnt vmcnt(0)
	v_mul_f64 v[0:1], v[6:7], v[20:21]
	v_fma_f64 v[52:53], v[4:5], v[18:19], -v[0:1]
	v_mul_f64 v[0:1], v[4:5], v[20:21]
	buffer_store_dword v18, off, s[48:51], 0 offset:976 ; 4-byte Folded Spill
	buffer_store_dword v19, off, s[48:51], 0 offset:980 ; 4-byte Folded Spill
	;; [unrolled: 1-line block ×4, first 2 shown]
	v_fma_f64 v[54:55], v[6:7], v[18:19], v[0:1]
	buffer_load_dword v0, off, s[48:51], 0 offset:24 ; 4-byte Folded Reload
	s_waitcnt vmcnt(0)
	v_add_co_u32 v2, s1, s2, v0
	v_add_co_ci_u32_e64 v3, null, s3, 0, s1
	v_add_co_u32 v0, s1, 0x1000, v2
	v_add_co_ci_u32_e64 v1, s1, 0, v3, s1
	v_add_co_u32 v2, s1, 0x16a0, v2
	v_add_co_ci_u32_e64 v3, s1, 0, v3, s1
	s_clause 0x1
	global_load_dwordx4 v[4:7], v[0:1], off offset:1696
	global_load_dwordx4 v[16:19], v[2:3], off offset:16
	s_waitcnt vmcnt(1) lgkmcnt(0)
	v_mul_f64 v[0:1], v[10:11], v[6:7]
	v_fma_f64 v[64:65], v[8:9], v[4:5], -v[0:1]
	v_mul_f64 v[0:1], v[8:9], v[6:7]
	buffer_store_dword v4, off, s[48:51], 0 offset:1024 ; 4-byte Folded Spill
	buffer_store_dword v5, off, s[48:51], 0 offset:1028 ; 4-byte Folded Spill
	;; [unrolled: 1-line block ×4, first 2 shown]
	v_fma_f64 v[60:61], v[10:11], v[4:5], v[0:1]
	ds_read_b128 v[0:3], v92 offset:14976
	ds_read_b128 v[4:7], v92 offset:15808
	s_waitcnt vmcnt(0) lgkmcnt(1)
	v_mul_f64 v[8:9], v[2:3], v[18:19]
	v_fma_f64 v[66:67], v[0:1], v[16:17], -v[8:9]
	v_mul_f64 v[0:1], v[0:1], v[18:19]
	buffer_store_dword v16, off, s[48:51], 0 offset:992 ; 4-byte Folded Spill
	buffer_store_dword v17, off, s[48:51], 0 offset:996 ; 4-byte Folded Spill
	;; [unrolled: 1-line block ×4, first 2 shown]
	v_add_f64 v[68:69], v[64:65], v[66:67]
	v_fma_f64 v[62:63], v[2:3], v[16:17], v[0:1]
	buffer_load_dword v0, off, s[48:51], 0 offset:40 ; 4-byte Folded Reload
	v_add_f64 v[70:71], v[60:61], v[62:63]
	v_add_f64 v[156:157], v[60:61], -v[62:63]
	s_waitcnt vmcnt(0)
	v_add_co_u32 v2, s1, s2, v0
	v_add_co_ci_u32_e64 v3, null, s3, 0, s1
	v_add_co_u32 v0, s1, 0x1000, v2
	v_add_co_ci_u32_e64 v1, s1, 0, v3, s1
	v_add_co_u32 v2, s1, 0x16a0, v2
	v_add_co_ci_u32_e64 v3, s1, 0, v3, s1
	s_clause 0x1
	global_load_dwordx4 v[56:59], v[0:1], off offset:1696
	global_load_dwordx4 v[18:21], v[2:3], off offset:16
	ds_read_b128 v[0:3], v92 offset:9984
	ds_read_b128 v[8:11], v92 offset:10816
	s_waitcnt vmcnt(1) lgkmcnt(1)
	v_mul_f64 v[16:17], v[2:3], v[58:59]
	v_fma_f64 v[72:73], v[0:1], v[56:57], -v[16:17]
	v_mul_f64 v[0:1], v[0:1], v[58:59]
	buffer_store_dword v56, off, s[48:51], 0 offset:1008 ; 4-byte Folded Spill
	buffer_store_dword v57, off, s[48:51], 0 offset:1012 ; 4-byte Folded Spill
	;; [unrolled: 1-line block ×4, first 2 shown]
	v_fma_f64 v[74:75], v[2:3], v[56:57], v[0:1]
	s_waitcnt vmcnt(0)
	v_mul_f64 v[0:1], v[6:7], v[20:21]
	v_fma_f64 v[76:77], v[4:5], v[18:19], -v[0:1]
	v_mul_f64 v[0:1], v[4:5], v[20:21]
	buffer_store_dword v18, off, s[48:51], 0 offset:944 ; 4-byte Folded Spill
	buffer_store_dword v19, off, s[48:51], 0 offset:948 ; 4-byte Folded Spill
	;; [unrolled: 1-line block ×4, first 2 shown]
	v_add_f64 v[20:21], v[26:27], -v[30:31]
	v_fma_f64 v[78:79], v[6:7], v[18:19], v[0:1]
	buffer_load_dword v0, off, s[48:51], 0 offset:56 ; 4-byte Folded Reload
	s_waitcnt vmcnt(0)
	v_add_co_u32 v2, s1, s2, v0
	v_add_co_ci_u32_e64 v3, null, s3, 0, s1
	s_mov_b32 s2, 0xe8584caa
	v_add_co_u32 v0, s1, 0x1000, v2
	v_add_co_ci_u32_e64 v1, s1, 0, v3, s1
	v_add_co_u32 v2, s1, 0x16a0, v2
	v_add_co_ci_u32_e64 v3, s1, 0, v3, s1
	s_clause 0x1
	global_load_dwordx4 v[4:7], v[0:1], off offset:1696
	global_load_dwordx4 v[16:19], v[2:3], off offset:16
	s_mov_b32 s3, 0x3febb67a
	s_mov_b32 s4, s2
	s_waitcnt vmcnt(1) lgkmcnt(0)
	v_mul_f64 v[0:1], v[10:11], v[6:7]
	v_fma_f64 v[80:81], v[8:9], v[4:5], -v[0:1]
	v_mul_f64 v[0:1], v[8:9], v[6:7]
	buffer_store_dword v4, off, s[48:51], 0 offset:1040 ; 4-byte Folded Spill
	buffer_store_dword v5, off, s[48:51], 0 offset:1044 ; 4-byte Folded Spill
	;; [unrolled: 1-line block ×4, first 2 shown]
	v_add_f64 v[8:9], v[24:25], v[28:29]
	v_fma_f64 v[82:83], v[10:11], v[4:5], v[0:1]
	ds_read_b128 v[0:3], v92 offset:16640
	s_waitcnt vmcnt(0) lgkmcnt(0)
	v_mul_f64 v[4:5], v[2:3], v[18:19]
	v_fma_f64 v[84:85], v[0:1], v[16:17], -v[4:5]
	v_mul_f64 v[0:1], v[0:1], v[18:19]
	buffer_store_dword v16, off, s[48:51], 0 offset:960 ; 4-byte Folded Spill
	buffer_store_dword v17, off, s[48:51], 0 offset:964 ; 4-byte Folded Spill
	;; [unrolled: 1-line block ×4, first 2 shown]
	v_fma_f64 v[86:87], v[2:3], v[16:17], v[0:1]
	ds_read_b128 v[0:3], v92
	ds_read_b128 v[4:7], v92 offset:832
	s_waitcnt lgkmcnt(1)
	v_fma_f64 v[18:19], v[8:9], -0.5, v[0:1]
	v_add_f64 v[8:9], v[26:27], v[30:31]
	v_add_f64 v[0:1], v[0:1], v[24:25]
	v_fma_f64 v[16:17], v[20:21], s[2:3], v[18:19]
	v_fma_f64 v[22:23], v[8:9], -0.5, v[2:3]
	v_add_f64 v[8:9], v[0:1], v[28:29]
	v_add_f64 v[0:1], v[24:25], -v[28:29]
	v_add_f64 v[2:3], v[2:3], v[26:27]
	v_fma_f64 v[20:21], v[20:21], s[4:5], v[18:19]
	v_add_f64 v[26:27], v[34:35], -v[38:39]
	v_fma_f64 v[18:19], v[0:1], s[4:5], v[22:23]
	v_fma_f64 v[22:23], v[0:1], s[2:3], v[22:23]
	v_add_f64 v[0:1], v[32:33], v[36:37]
	v_add_f64 v[10:11], v[2:3], v[30:31]
	;; [unrolled: 1-line block ×3, first 2 shown]
	v_add_f64 v[30:31], v[32:33], -v[36:37]
	s_waitcnt lgkmcnt(0)
	v_fma_f64 v[0:1], v[0:1], -0.5, v[4:5]
	v_add_f64 v[4:5], v[4:5], v[32:33]
	v_fma_f64 v[2:3], v[2:3], -0.5, v[6:7]
	v_add_f64 v[6:7], v[6:7], v[34:35]
	v_fma_f64 v[24:25], v[26:27], s[2:3], v[0:1]
	v_add_f64 v[4:5], v[4:5], v[36:37]
	v_add_f64 v[36:37], v[40:41], v[44:45]
	v_fma_f64 v[28:29], v[26:27], s[4:5], v[0:1]
	v_fma_f64 v[26:27], v[30:31], s[4:5], v[2:3]
	;; [unrolled: 1-line block ×3, first 2 shown]
	ds_read_b128 v[0:3], v92 offset:1664
	ds_read_b128 v[32:35], v92 offset:2496
	v_add_f64 v[6:7], v[6:7], v[38:39]
	s_waitcnt lgkmcnt(1)
	v_fma_f64 v[56:57], v[36:37], -0.5, v[0:1]
	v_add_f64 v[36:37], v[42:43], v[46:47]
	v_add_f64 v[0:1], v[0:1], v[40:41]
	v_fma_f64 v[58:59], v[36:37], -0.5, v[2:3]
	v_add_f64 v[2:3], v[2:3], v[42:43]
	v_add_f64 v[42:43], v[42:43], -v[46:47]
	v_add_f64 v[36:37], v[0:1], v[44:45]
	v_add_f64 v[0:1], v[40:41], -v[44:45]
	v_add_f64 v[38:39], v[2:3], v[46:47]
	v_add_f64 v[2:3], v[50:51], v[54:55]
	v_fma_f64 v[40:41], v[42:43], s[2:3], v[56:57]
	v_fma_f64 v[44:45], v[42:43], s[4:5], v[56:57]
	;; [unrolled: 1-line block ×4, first 2 shown]
	v_add_f64 v[0:1], v[48:49], v[52:53]
	s_waitcnt lgkmcnt(0)
	v_fma_f64 v[2:3], v[2:3], -0.5, v[34:35]
	v_add_f64 v[34:35], v[34:35], v[50:51]
	v_add_f64 v[50:51], v[50:51], -v[54:55]
	v_fma_f64 v[0:1], v[0:1], -0.5, v[32:33]
	v_add_f64 v[32:33], v[32:33], v[48:49]
	v_add_f64 v[34:35], v[34:35], v[54:55]
	v_add_f64 v[54:55], v[48:49], -v[52:53]
	v_fma_f64 v[48:49], v[50:51], s[2:3], v[0:1]
	v_add_f64 v[32:33], v[32:33], v[52:53]
	v_fma_f64 v[52:53], v[50:51], s[4:5], v[0:1]
	v_fma_f64 v[50:51], v[54:55], s[4:5], v[2:3]
	v_fma_f64 v[54:55], v[54:55], s[2:3], v[2:3]
	ds_read_b128 v[0:3], v92 offset:3328
	ds_read_b128 v[56:59], v92 offset:4160
	s_waitcnt lgkmcnt(1)
	v_fma_f64 v[68:69], v[68:69], -0.5, v[0:1]
	v_add_f64 v[0:1], v[0:1], v[64:65]
	v_fma_f64 v[70:71], v[70:71], -0.5, v[2:3]
	v_add_f64 v[2:3], v[2:3], v[60:61]
	v_add_f64 v[60:61], v[0:1], v[66:67]
	v_add_f64 v[0:1], v[64:65], -v[66:67]
	v_add_f64 v[62:63], v[2:3], v[62:63]
	v_add_f64 v[2:3], v[74:75], v[78:79]
	v_fma_f64 v[64:65], v[156:157], s[2:3], v[68:69]
	v_fma_f64 v[68:69], v[156:157], s[4:5], v[68:69]
	v_add_f64 v[156:157], v[82:83], -v[86:87]
	v_fma_f64 v[66:67], v[0:1], s[4:5], v[70:71]
	v_fma_f64 v[70:71], v[0:1], s[2:3], v[70:71]
	v_add_f64 v[0:1], v[72:73], v[76:77]
	s_waitcnt lgkmcnt(0)
	v_fma_f64 v[2:3], v[2:3], -0.5, v[58:59]
	v_add_f64 v[58:59], v[58:59], v[74:75]
	v_add_f64 v[74:75], v[74:75], -v[78:79]
	v_fma_f64 v[0:1], v[0:1], -0.5, v[56:57]
	v_add_f64 v[56:57], v[56:57], v[72:73]
	v_add_f64 v[58:59], v[58:59], v[78:79]
	v_add_f64 v[78:79], v[72:73], -v[76:77]
	v_fma_f64 v[72:73], v[74:75], s[2:3], v[0:1]
	v_add_f64 v[56:57], v[56:57], v[76:77]
	v_fma_f64 v[76:77], v[74:75], s[4:5], v[0:1]
	v_add_f64 v[0:1], v[80:81], v[84:85]
	v_fma_f64 v[74:75], v[78:79], s[4:5], v[2:3]
	v_fma_f64 v[78:79], v[78:79], s[2:3], v[2:3]
	v_add_f64 v[2:3], v[82:83], v[86:87]
	v_fma_f64 v[0:1], v[0:1], -0.5, v[12:13]
	v_add_f64 v[12:13], v[12:13], v[80:81]
	v_fma_f64 v[2:3], v[2:3], -0.5, v[14:15]
	v_add_f64 v[14:15], v[14:15], v[82:83]
	v_add_f64 v[12:13], v[12:13], v[84:85]
	v_add_f64 v[84:85], v[80:81], -v[84:85]
	v_fma_f64 v[80:81], v[156:157], s[2:3], v[0:1]
	v_add_f64 v[14:15], v[14:15], v[86:87]
	v_fma_f64 v[0:1], v[156:157], s[4:5], v[0:1]
	ds_write_b128 v92, v[8:11]
	ds_write_b128 v92, v[4:7] offset:832
	ds_write_b128 v92, v[36:39] offset:1664
	;; [unrolled: 1-line block ×18, first 2 shown]
	v_add_co_u32 v4, s1, 0x4000, v95
	v_add_co_ci_u32_e64 v5, s1, 0, v94, s1
	v_fma_f64 v[82:83], v[84:85], s[4:5], v[2:3]
	v_fma_f64 v[2:3], v[84:85], s[2:3], v[2:3]
	v_add_co_u32 v86, s1, 0x8000, v95
	v_add_co_ci_u32_e64 v87, s1, 0, v94, s1
	ds_write_b128 v92, v[80:83] offset:10816
	ds_write_b128 v92, v[0:3] offset:16640
	s_waitcnt lgkmcnt(0)
	s_waitcnt_vscnt null, 0x0
	s_barrier
	buffer_gl0_inv
	buffer_store_dword v4, off, s[48:51], 0 offset:1096 ; 4-byte Folded Spill
	buffer_store_dword v5, off, s[48:51], 0 offset:1100 ; 4-byte Folded Spill
	global_load_dwordx4 v[4:7], v[4:5], off offset:1088
	ds_read_b128 v[8:11], v92
	ds_read_b128 v[12:15], v92 offset:832
	global_load_dwordx4 v[16:19], v[86:87], off offset:928
	s_waitcnt vmcnt(1) lgkmcnt(1)
	v_mul_f64 v[20:21], v[10:11], v[6:7]
	v_mul_f64 v[22:23], v[8:9], v[6:7]
	v_fma_f64 v[6:7], v[8:9], v[4:5], -v[20:21]
	v_fma_f64 v[8:9], v[10:11], v[4:5], v[22:23]
	v_add_co_u32 v4, s1, 0x6000, v95
	v_add_co_ci_u32_e64 v5, s1, 0, v94, s1
	s_clause 0x1
	global_load_dwordx4 v[20:23], v[4:5], off offset:1632
	global_load_dwordx4 v[24:27], v[4:5], off offset:384
	ds_read_b128 v[28:31], v92 offset:8736
	ds_read_b128 v[32:35], v92 offset:9568
	s_waitcnt vmcnt(1) lgkmcnt(1)
	v_mul_f64 v[4:5], v[30:31], v[22:23]
	v_mul_f64 v[10:11], v[28:29], v[22:23]
	v_fma_f64 v[28:29], v[28:29], v[20:21], -v[4:5]
	v_add_co_u32 v4, s1, 0x4440, v95
	v_add_co_ci_u32_e64 v5, s1, 0, v94, s1
	v_fma_f64 v[30:31], v[30:31], v[20:21], v[10:11]
	s_clause 0x1
	global_load_dwordx4 v[20:23], v[4:5], off offset:832
	global_load_dwordx4 v[36:39], v[4:5], off offset:1664
	s_waitcnt vmcnt(1)
	v_mul_f64 v[10:11], v[14:15], v[22:23]
	v_mul_f64 v[22:23], v[12:13], v[22:23]
	v_fma_f64 v[10:11], v[12:13], v[20:21], -v[10:11]
	v_fma_f64 v[12:13], v[14:15], v[20:21], v[22:23]
	v_add_co_u32 v14, s1, 0x6800, v95
	v_add_co_ci_u32_e64 v15, s1, 0, v94, s1
	s_clause 0x1
	global_load_dwordx4 v[20:23], v[14:15], off offset:416
	global_load_dwordx4 v[40:43], v[14:15], off offset:1248
	s_waitcnt vmcnt(1) lgkmcnt(0)
	v_mul_f64 v[14:15], v[34:35], v[22:23]
	v_mul_f64 v[22:23], v[32:33], v[22:23]
	v_fma_f64 v[32:33], v[32:33], v[20:21], -v[14:15]
	v_fma_f64 v[34:35], v[34:35], v[20:21], v[22:23]
	ds_read_b128 v[20:23], v92 offset:1664
	ds_read_b128 v[44:47], v92 offset:2496
	s_waitcnt lgkmcnt(1)
	v_mul_f64 v[14:15], v[22:23], v[38:39]
	v_mul_f64 v[38:39], v[20:21], v[38:39]
	v_fma_f64 v[20:21], v[20:21], v[36:37], -v[14:15]
	v_fma_f64 v[22:23], v[22:23], v[36:37], v[38:39]
	ds_read_b128 v[36:39], v92 offset:10400
	ds_read_b128 v[48:51], v92 offset:11232
	s_waitcnt vmcnt(0) lgkmcnt(1)
	v_mul_f64 v[14:15], v[38:39], v[42:43]
	v_mul_f64 v[42:43], v[36:37], v[42:43]
	v_fma_f64 v[36:37], v[36:37], v[40:41], -v[14:15]
	v_add_co_u32 v14, s1, 0x4800, v95
	v_add_co_ci_u32_e64 v15, s1, 0, v94, s1
	v_add_co_u32 v70, s1, 0x7000, v95
	v_add_co_ci_u32_e64 v71, s1, 0, v94, s1
	v_fma_f64 v[38:39], v[38:39], v[40:41], v[42:43]
	s_clause 0x1
	global_load_dwordx4 v[40:43], v[14:15], off offset:1536
	global_load_dwordx4 v[52:55], v[70:71], off offset:32
	ds_read_b128 v[62:65], v92 offset:4160
	s_waitcnt vmcnt(1)
	v_mul_f64 v[14:15], v[46:47], v[42:43]
	v_mul_f64 v[56:57], v[44:45], v[42:43]
	v_fma_f64 v[42:43], v[44:45], v[40:41], -v[14:15]
	s_waitcnt vmcnt(0) lgkmcnt(1)
	v_mul_f64 v[14:15], v[50:51], v[54:55]
	v_fma_f64 v[44:45], v[46:47], v[40:41], v[56:57]
	v_mul_f64 v[40:41], v[48:49], v[54:55]
	ds_read_b128 v[54:57], v92 offset:3328
	v_fma_f64 v[46:47], v[48:49], v[52:53], -v[14:15]
	v_add_co_u32 v14, s1, 0x5000, v95
	v_add_co_ci_u32_e64 v15, s1, 0, v94, s1
	v_fma_f64 v[48:49], v[50:51], v[52:53], v[40:41]
	s_clause 0x1
	global_load_dwordx4 v[50:53], v[14:15], off offset:320
	global_load_dwordx4 v[58:61], v[14:15], off offset:1152
	s_waitcnt vmcnt(1) lgkmcnt(0)
	v_mul_f64 v[40:41], v[56:57], v[52:53]
	v_mul_f64 v[66:67], v[54:55], v[52:53]
	v_fma_f64 v[52:53], v[54:55], v[50:51], -v[40:41]
	v_fma_f64 v[54:55], v[56:57], v[50:51], v[66:67]
	s_clause 0x1
	global_load_dwordx4 v[66:69], v[70:71], off offset:864
	global_load_dwordx4 v[70:73], v[70:71], off offset:1696
	ds_read_b128 v[74:77], v92 offset:12064
	ds_read_b128 v[78:81], v92 offset:12896
	s_waitcnt vmcnt(1) lgkmcnt(1)
	v_mul_f64 v[40:41], v[76:77], v[68:69]
	v_mul_f64 v[50:51], v[74:75], v[68:69]
	v_fma_f64 v[74:75], v[74:75], v[66:67], -v[40:41]
	v_mul_f64 v[40:41], v[64:65], v[60:61]
	v_fma_f64 v[76:77], v[76:77], v[66:67], v[50:51]
	v_mul_f64 v[50:51], v[62:63], v[60:61]
	v_fma_f64 v[56:57], v[62:63], v[58:59], -v[40:41]
	s_waitcnt vmcnt(0) lgkmcnt(0)
	v_mul_f64 v[40:41], v[80:81], v[72:73]
	v_fma_f64 v[58:59], v[64:65], v[58:59], v[50:51]
	v_mul_f64 v[50:51], v[78:79], v[72:73]
	v_fma_f64 v[60:61], v[78:79], v[70:71], -v[40:41]
	v_add_co_u32 v40, s1, 0x7800, v95
	v_add_co_ci_u32_e64 v41, s1, 0, v94, s1
	v_fma_f64 v[62:63], v[80:81], v[70:71], v[50:51]
	s_clause 0x1
	global_load_dwordx4 v[64:67], v[14:15], off offset:1984
	global_load_dwordx4 v[68:71], v[40:41], off offset:480
	ds_read_b128 v[78:81], v92 offset:4992
	ds_read_b128 v[82:85], v92 offset:5824
	s_waitcnt vmcnt(1) lgkmcnt(1)
	v_mul_f64 v[14:15], v[80:81], v[66:67]
	v_mul_f64 v[50:51], v[78:79], v[66:67]
	v_fma_f64 v[78:79], v[78:79], v[64:65], -v[14:15]
	v_fma_f64 v[80:81], v[80:81], v[64:65], v[50:51]
	ds_read_b128 v[64:67], v92 offset:13728
	ds_read_b128 v[156:159], v92 offset:14560
	s_waitcnt vmcnt(0) lgkmcnt(1)
	v_mul_f64 v[14:15], v[66:67], v[70:71]
	v_mul_f64 v[50:51], v[64:65], v[70:71]
	v_fma_f64 v[64:65], v[64:65], v[68:69], -v[14:15]
	v_add_co_u32 v14, s1, 0x5800, v95
	v_add_co_ci_u32_e64 v15, s1, 0, v94, s1
	v_fma_f64 v[66:67], v[66:67], v[68:69], v[50:51]
	s_clause 0x1
	global_load_dwordx4 v[68:71], v[40:41], off offset:1312
	global_load_dwordx4 v[160:163], v[14:15], off offset:768
	s_waitcnt vmcnt(0)
	v_mul_f64 v[40:41], v[84:85], v[162:163]
	v_mul_f64 v[50:51], v[82:83], v[162:163]
	v_fma_f64 v[82:83], v[82:83], v[160:161], -v[40:41]
	v_fma_f64 v[84:85], v[84:85], v[160:161], v[50:51]
	s_waitcnt lgkmcnt(0)
	v_mul_f64 v[40:41], v[158:159], v[70:71]
	v_mul_f64 v[50:51], v[156:157], v[70:71]
	v_fma_f64 v[70:71], v[156:157], v[68:69], -v[40:41]
	v_fma_f64 v[72:73], v[158:159], v[68:69], v[50:51]
	s_clause 0x1
	global_load_dwordx4 v[156:159], v[14:15], off offset:1600
	global_load_dwordx4 v[160:163], v[86:87], off offset:96
	ds_read_b128 v[164:167], v92 offset:6656
	ds_read_b128 v[168:171], v92 offset:7488
	s_waitcnt vmcnt(1) lgkmcnt(1)
	v_mul_f64 v[14:15], v[166:167], v[158:159]
	v_mul_f64 v[40:41], v[164:165], v[158:159]
	v_fma_f64 v[164:165], v[164:165], v[156:157], -v[14:15]
	v_fma_f64 v[166:167], v[166:167], v[156:157], v[40:41]
	ds_read_b128 v[156:159], v92 offset:15392
	ds_read_b128 v[172:175], v92 offset:16224
	s_waitcnt vmcnt(0) lgkmcnt(1)
	v_mul_f64 v[14:15], v[158:159], v[162:163]
	v_mul_f64 v[40:41], v[156:157], v[162:163]
	v_fma_f64 v[156:157], v[156:157], v[160:161], -v[14:15]
	v_mul_f64 v[14:15], v[170:171], v[26:27]
	v_mul_f64 v[26:27], v[168:169], v[26:27]
	v_fma_f64 v[158:159], v[158:159], v[160:161], v[40:41]
	v_fma_f64 v[160:161], v[168:169], v[24:25], -v[14:15]
	s_waitcnt lgkmcnt(0)
	v_mul_f64 v[14:15], v[174:175], v[18:19]
	v_mul_f64 v[18:19], v[172:173], v[18:19]
	v_fma_f64 v[162:163], v[170:171], v[24:25], v[26:27]
	v_fma_f64 v[14:15], v[172:173], v[16:17], -v[14:15]
	v_fma_f64 v[16:17], v[174:175], v[16:17], v[18:19]
	ds_write_b128 v92, v[6:9]
	ds_write_b128 v92, v[28:31] offset:8736
	ds_write_b128 v92, v[10:13] offset:832
	;; [unrolled: 1-line block ×19, first 2 shown]
	s_and_saveexec_b32 s2, vcc_lo
	s_cbranch_execz .LBB0_17
; %bb.16:
	v_add_co_u32 v6, s1, 0x2000, v4
	v_add_co_ci_u32_e64 v7, s1, 0, v5, s1
	v_add_co_u32 v8, s1, 0x4000, v4
	v_add_co_ci_u32_e64 v9, s1, 0, v5, s1
	s_clause 0x1
	global_load_dwordx4 v[4:7], v[6:7], off offset:128
	global_load_dwordx4 v[8:11], v[8:9], off offset:672
	ds_read_b128 v[12:15], v92 offset:8320
	ds_read_b128 v[16:19], v92 offset:17056
	s_waitcnt vmcnt(1) lgkmcnt(1)
	v_mul_f64 v[20:21], v[14:15], v[6:7]
	v_mul_f64 v[6:7], v[12:13], v[6:7]
	s_waitcnt vmcnt(0) lgkmcnt(0)
	v_mul_f64 v[22:23], v[18:19], v[10:11]
	v_mul_f64 v[24:25], v[16:17], v[10:11]
	v_fma_f64 v[10:11], v[12:13], v[4:5], -v[20:21]
	v_fma_f64 v[12:13], v[14:15], v[4:5], v[6:7]
	v_fma_f64 v[4:5], v[16:17], v[8:9], -v[22:23]
	v_fma_f64 v[6:7], v[18:19], v[8:9], v[24:25]
	ds_write_b128 v92, v[10:13] offset:8320
	ds_write_b128 v92, v[4:7] offset:17056
.LBB0_17:
	s_or_b32 exec_lo, exec_lo, s2
	s_waitcnt lgkmcnt(0)
	s_waitcnt_vscnt null, 0x0
	s_barrier
	buffer_gl0_inv
	ds_read_b128 v[8:11], v92
	ds_read_b128 v[12:15], v92 offset:832
	ds_read_b128 v[160:163], v92 offset:8736
	;; [unrolled: 1-line block ×19, first 2 shown]
	s_mov_b32 s1, exec_lo
	s_clause 0xf
	buffer_load_dword v88, off, s[48:51], 0 offset:496
	buffer_load_dword v89, off, s[48:51], 0 offset:500
	;; [unrolled: 1-line block ×16, first 2 shown]
	s_and_b32 s2, s1, vcc_lo
	s_mov_b32 exec_lo, s2
	s_cbranch_execz .LBB0_19
; %bb.18:
	ds_read_b128 v[0:3], v92 offset:8320
	ds_read_b128 v[80:83], v92 offset:17056
	s_waitcnt lgkmcnt(0)
	buffer_store_dword v80, off, s[48:51], 0 offset:64 ; 4-byte Folded Spill
	buffer_store_dword v81, off, s[48:51], 0 offset:68 ; 4-byte Folded Spill
	;; [unrolled: 1-line block ×4, first 2 shown]
.LBB0_19:
	s_or_b32 exec_lo, exec_lo, s1
	s_waitcnt lgkmcnt(0)
	v_add_f64 v[84:85], v[44:45], -v[4:5]
	v_add_f64 v[86:87], v[46:47], -v[6:7]
	s_clause 0x3
	buffer_load_dword v4, off, s[48:51], 0 offset:64
	buffer_load_dword v5, off, s[48:51], 0 offset:68
	;; [unrolled: 1-line block ×4, first 2 shown]
	v_add_f64 v[68:69], v[20:21], -v[68:69]
	s_waitcnt vmcnt(0)
	s_waitcnt_vscnt null, 0x0
	s_barrier
	buffer_gl0_inv
	v_add_f64 v[80:81], v[8:9], -v[160:161]
	v_add_f64 v[82:83], v[10:11], -v[162:163]
	;; [unrolled: 1-line block ×17, first 2 shown]
	v_fma_f64 v[44:45], v[44:45], 2.0, -v[84:85]
	v_fma_f64 v[156:157], v[20:21], 2.0, -v[68:69]
	;; [unrolled: 1-line block ×20, first 2 shown]
	v_add_f64 v[4:5], v[0:1], -v[4:5]
	v_add_f64 v[6:7], v[2:3], -v[6:7]
	v_fma_f64 v[20:21], v[0:1], 2.0, -v[4:5]
	buffer_load_dword v0, off, s[48:51], 0 offset:548 ; 4-byte Folded Reload
	v_fma_f64 v[22:23], v[2:3], 2.0, -v[6:7]
	s_waitcnt vmcnt(0)
	ds_write_b128 v0, v[8:11]
	ds_write_b128 v0, v[80:83] offset:16
	buffer_load_dword v0, off, s[48:51], 0 offset:556 ; 4-byte Folded Reload
	s_waitcnt vmcnt(0)
	ds_write_b128 v0, v[12:15]
	ds_write_b128 v0, v[76:79] offset:16
	buffer_load_dword v0, off, s[48:51], 0 offset:580 ; 4-byte Folded Reload
	;; [unrolled: 4-line block ×9, first 2 shown]
	s_waitcnt vmcnt(0)
	ds_write_b128 v0, v[44:47]
	ds_write_b128 v0, v[84:87] offset:16
	s_and_saveexec_b32 s1, vcc_lo
	s_cbranch_execz .LBB0_21
; %bb.20:
	buffer_load_dword v0, off, s[48:51], 0 offset:1092 ; 4-byte Folded Reload
	s_waitcnt vmcnt(0)
	ds_write_b128 v0, v[20:23]
	ds_write_b128 v0, v[4:7] offset:16
.LBB0_21:
	s_or_b32 exec_lo, exec_lo, s1
	s_waitcnt lgkmcnt(0)
	s_barrier
	buffer_gl0_inv
	ds_read_b128 v[12:15], v92
	ds_read_b128 v[24:27], v92 offset:832
	ds_read_b128 v[160:163], v92 offset:8736
	;; [unrolled: 1-line block ×19, first 2 shown]
	s_and_saveexec_b32 s1, vcc_lo
	s_cbranch_execz .LBB0_23
; %bb.22:
	ds_read_b128 v[20:23], v92 offset:8320
	ds_read_b128 v[4:7], v92 offset:17056
.LBB0_23:
	s_or_b32 exec_lo, exec_lo, s1
	s_waitcnt lgkmcnt(17)
	v_mul_f64 v[80:81], v[130:131], v[162:163]
	v_mul_f64 v[82:83], v[130:131], v[160:161]
	s_waitcnt lgkmcnt(13)
	v_mul_f64 v[94:95], v[130:131], v[74:75]
	v_mul_f64 v[156:157], v[130:131], v[72:73]
	;; [unrolled: 3-line block ×3, first 2 shown]
	s_waitcnt lgkmcnt(9)
	v_mul_f64 v[166:167], v[130:131], v[78:79]
	s_waitcnt lgkmcnt(8)
	v_mul_f64 v[170:171], v[130:131], v[66:67]
	v_mul_f64 v[84:85], v[130:131], v[254:255]
	;; [unrolled: 1-line block ×4, first 2 shown]
	s_waitcnt lgkmcnt(5)
	v_mul_f64 v[172:173], v[130:131], v[8:9]
	s_waitcnt lgkmcnt(4)
	v_mul_f64 v[174:175], v[130:131], v[2:3]
	v_fma_f64 v[80:81], v[128:129], v[160:161], v[80:81]
	v_mul_f64 v[160:161], v[130:131], v[64:65]
	v_fma_f64 v[82:83], v[128:129], v[162:163], -v[82:83]
	v_mul_f64 v[162:163], v[130:131], v[10:11]
	v_fma_f64 v[72:73], v[128:129], v[72:73], v[94:95]
	v_fma_f64 v[74:75], v[128:129], v[74:75], -v[156:157]
	v_fma_f64 v[94:95], v[128:129], v[68:69], v[158:159]
	v_fma_f64 v[156:157], v[128:129], v[70:71], -v[164:165]
	v_fma_f64 v[76:77], v[128:129], v[76:77], v[166:167]
	v_mul_f64 v[68:69], v[130:131], v[0:1]
	s_waitcnt lgkmcnt(1)
	v_mul_f64 v[70:71], v[130:131], v[62:63]
	v_fma_f64 v[158:159], v[128:129], v[64:65], v[170:171]
	v_mul_f64 v[64:65], v[130:131], v[60:61]
	s_waitcnt lgkmcnt(0)
	v_mul_f64 v[164:165], v[130:131], v[16:17]
	v_mul_f64 v[166:167], v[130:131], v[6:7]
	v_fma_f64 v[10:11], v[128:129], v[10:11], -v[172:173]
	v_fma_f64 v[84:85], v[128:129], v[252:253], v[84:85]
	v_fma_f64 v[86:87], v[128:129], v[254:255], -v[86:87]
	v_fma_f64 v[78:79], v[128:129], v[78:79], -v[168:169]
	v_fma_f64 v[0:1], v[128:129], v[0:1], v[174:175]
	v_fma_f64 v[160:161], v[128:129], v[66:67], -v[160:161]
	v_mul_f64 v[66:67], v[130:131], v[18:19]
	v_mul_f64 v[130:131], v[130:131], v[4:5]
	v_fma_f64 v[8:9], v[128:129], v[8:9], v[162:163]
	v_add_f64 v[76:77], v[36:37], -v[76:77]
	v_fma_f64 v[2:3], v[128:129], v[2:3], -v[68:69]
	v_fma_f64 v[162:163], v[128:129], v[60:61], v[70:71]
	v_add_f64 v[60:61], v[12:13], -v[80:81]
	v_fma_f64 v[168:169], v[128:129], v[62:63], -v[64:65]
	v_fma_f64 v[18:19], v[128:129], v[18:19], -v[164:165]
	v_fma_f64 v[164:165], v[128:129], v[4:5], v[166:167]
	v_add_f64 v[62:63], v[14:15], -v[82:83]
	v_add_f64 v[64:65], v[24:25], -v[84:85]
	;; [unrolled: 1-line block ×9, first 2 shown]
	v_fma_f64 v[16:17], v[128:129], v[16:17], v[66:67]
	v_fma_f64 v[166:167], v[128:129], v[6:7], -v[130:131]
	v_add_f64 v[128:129], v[44:45], -v[8:9]
	v_add_f64 v[130:131], v[46:47], -v[10:11]
	;; [unrolled: 1-line block ×4, first 2 shown]
	v_fma_f64 v[36:37], v[36:37], 2.0, -v[76:77]
	v_add_f64 v[6:7], v[50:51], -v[2:3]
	v_add_f64 v[0:1], v[52:53], -v[162:163]
	v_fma_f64 v[84:85], v[12:13], 2.0, -v[60:61]
	v_add_f64 v[2:3], v[54:55], -v[168:169]
	v_add_f64 v[10:11], v[58:59], -v[18:19]
	v_fma_f64 v[86:87], v[14:15], 2.0, -v[62:63]
	v_fma_f64 v[156:157], v[24:25], 2.0, -v[64:65]
	;; [unrolled: 1-line block ×9, first 2 shown]
	v_add_f64 v[8:9], v[56:57], -v[16:17]
	v_add_f64 v[16:17], v[20:21], -v[164:165]
	;; [unrolled: 1-line block ×3, first 2 shown]
	v_fma_f64 v[44:45], v[44:45], 2.0, -v[128:129]
	v_fma_f64 v[158:159], v[26:27], 2.0, -v[66:67]
	;; [unrolled: 1-line block ×11, first 2 shown]
	buffer_store_dword v12, off, s[48:51], 0 offset:8 ; 4-byte Folded Spill
	buffer_store_dword v13, off, s[48:51], 0 offset:12 ; 4-byte Folded Spill
	;; [unrolled: 1-line block ×4, first 2 shown]
	s_waitcnt_vscnt null, 0x0
	s_barrier
	buffer_gl0_inv
	buffer_load_dword v12, off, s[48:51], 0 offset:736 ; 4-byte Folded Reload
	s_waitcnt vmcnt(0)
	ds_write_b128 v12, v[84:87]
	ds_write_b128 v12, v[60:63] offset:32
	buffer_load_dword v12, off, s[48:51], 0 offset:716 ; 4-byte Folded Reload
	s_waitcnt vmcnt(0)
	ds_write_b128 v12, v[156:159]
	ds_write_b128 v12, v[64:67] offset:32
	;; [unrolled: 4-line block ×8, first 2 shown]
	buffer_load_dword v12, off, s[48:51], 0 offset:608 ; 4-byte Folded Reload
	buffer_store_dword v48, off, s[48:51], 0 offset:24 ; 4-byte Folded Spill
	buffer_store_dword v49, off, s[48:51], 0 offset:28 ; 4-byte Folded Spill
	buffer_store_dword v50, off, s[48:51], 0 offset:32 ; 4-byte Folded Spill
	buffer_store_dword v51, off, s[48:51], 0 offset:36 ; 4-byte Folded Spill
	s_waitcnt vmcnt(0)
	ds_write_b128 v12, v[48:51]
	ds_write_b128 v12, v[0:3] offset:32
	buffer_load_dword v12, off, s[48:51], 0 offset:740 ; 4-byte Folded Reload
	buffer_store_dword v52, off, s[48:51], 0 offset:40 ; 4-byte Folded Spill
	buffer_store_dword v53, off, s[48:51], 0 offset:44 ; 4-byte Folded Spill
	;; [unrolled: 1-line block ×4, first 2 shown]
	s_waitcnt vmcnt(0)
	ds_write_b128 v12, v[52:55]
	ds_write_b128 v12, v[8:11] offset:32
	s_and_saveexec_b32 s1, vcc_lo
	s_cbranch_execz .LBB0_25
; %bb.24:
	s_clause 0x1
	buffer_load_dword v12, off, s[48:51], 0 offset:1088
	buffer_load_dword v13, off, s[48:51], 0 offset:564
	s_waitcnt vmcnt(0)
	v_and_or_b32 v28, 0x47c, v13, v12
	s_clause 0x3
	buffer_load_dword v12, off, s[48:51], 0 offset:8
	buffer_load_dword v13, off, s[48:51], 0 offset:12
	buffer_load_dword v14, off, s[48:51], 0 offset:16
	buffer_load_dword v15, off, s[48:51], 0 offset:20
	v_lshlrev_b32_e32 v28, 4, v28
	s_waitcnt vmcnt(0)
	ds_write_b128 v28, v[12:15]
	ds_write_b128 v28, v[16:19] offset:32
.LBB0_25:
	s_or_b32 exec_lo, exec_lo, s1
	s_waitcnt lgkmcnt(0)
	s_waitcnt_vscnt null, 0x0
	s_barrier
	buffer_gl0_inv
	ds_read_b128 v[28:31], v92
	ds_read_b128 v[76:79], v92 offset:1344
	ds_read_b128 v[72:75], v92 offset:2688
	;; [unrolled: 1-line block ×12, first 2 shown]
	s_and_saveexec_b32 s1, s0
	s_cbranch_execz .LBB0_27
; %bb.26:
	ds_read_b128 v[128:131], v92 offset:832
	ds_read_b128 v[24:27], v92 offset:2176
	;; [unrolled: 1-line block ×4, first 2 shown]
	s_waitcnt lgkmcnt(0)
	buffer_store_dword v0, off, s[48:51], 0 offset:24 ; 4-byte Folded Spill
	buffer_store_dword v1, off, s[48:51], 0 offset:28 ; 4-byte Folded Spill
	buffer_store_dword v2, off, s[48:51], 0 offset:32 ; 4-byte Folded Spill
	buffer_store_dword v3, off, s[48:51], 0 offset:36 ; 4-byte Folded Spill
	ds_read_b128 v[0:3], v92 offset:6208
	ds_read_b128 v[8:11], v92 offset:7552
	s_waitcnt lgkmcnt(0)
	buffer_store_dword v8, off, s[48:51], 0 offset:40 ; 4-byte Folded Spill
	buffer_store_dword v9, off, s[48:51], 0 offset:44 ; 4-byte Folded Spill
	buffer_store_dword v10, off, s[48:51], 0 offset:48 ; 4-byte Folded Spill
	buffer_store_dword v11, off, s[48:51], 0 offset:52 ; 4-byte Folded Spill
	ds_read_b128 v[8:11], v92 offset:8896
	ds_read_b128 v[12:15], v92 offset:10240
	;; [unrolled: 7-line block ×3, first 2 shown]
	s_waitcnt lgkmcnt(0)
	buffer_store_dword v12, off, s[48:51], 0 offset:128 ; 4-byte Folded Spill
	buffer_store_dword v13, off, s[48:51], 0 offset:132 ; 4-byte Folded Spill
	buffer_store_dword v14, off, s[48:51], 0 offset:136 ; 4-byte Folded Spill
	buffer_store_dword v15, off, s[48:51], 0 offset:140 ; 4-byte Folded Spill
	ds_read_b128 v[12:15], v92 offset:14272
	s_waitcnt lgkmcnt(0)
	buffer_store_dword v12, off, s[48:51], 0 offset:96 ; 4-byte Folded Spill
	buffer_store_dword v13, off, s[48:51], 0 offset:100 ; 4-byte Folded Spill
	buffer_store_dword v14, off, s[48:51], 0 offset:104 ; 4-byte Folded Spill
	buffer_store_dword v15, off, s[48:51], 0 offset:108 ; 4-byte Folded Spill
	ds_read_b128 v[12:15], v92 offset:15616
	;; [unrolled: 6-line block ×3, first 2 shown]
	s_waitcnt lgkmcnt(0)
	buffer_store_dword v12, off, s[48:51], 0 offset:144 ; 4-byte Folded Spill
	buffer_store_dword v13, off, s[48:51], 0 offset:148 ; 4-byte Folded Spill
	;; [unrolled: 1-line block ×4, first 2 shown]
.LBB0_27:
	s_or_b32 exec_lo, exec_lo, s1
	s_clause 0x3
	buffer_load_dword v120, off, s[48:51], 0 offset:1072
	buffer_load_dword v121, off, s[48:51], 0 offset:1076
	;; [unrolled: 1-line block ×4, first 2 shown]
	s_waitcnt lgkmcnt(11)
	v_mul_f64 v[82:83], v[110:111], v[76:77]
	s_waitcnt lgkmcnt(10)
	v_mul_f64 v[84:85], v[114:115], v[74:75]
	;; [unrolled: 2-line block ×3, first 2 shown]
	v_mul_f64 v[80:81], v[110:111], v[78:79]
	v_mul_f64 v[86:87], v[114:115], v[72:73]
	v_mul_f64 v[156:157], v[98:99], v[66:67]
	v_mul_f64 v[158:159], v[98:99], v[64:65]
	v_mul_f64 v[160:161], v[142:143], v[70:71]
	v_mul_f64 v[162:163], v[106:107], v[62:63]
	v_mul_f64 v[164:165], v[106:107], v[60:61]
	v_mul_f64 v[166:167], v[126:127], v[58:59]
	v_mul_f64 v[168:169], v[102:103], v[54:55]
	s_mov_b32 s40, 0x4267c47c
	s_mov_b32 s16, 0x42a4c3d2
	;; [unrolled: 1-line block ×10, first 2 shown]
	v_fma_f64 v[82:83], v[108:109], v[78:79], -v[82:83]
	v_fma_f64 v[72:73], v[112:113], v[72:73], v[84:85]
	v_mul_f64 v[84:85], v[102:103], v[52:53]
	v_fma_f64 v[70:71], v[140:141], v[70:71], -v[94:95]
	v_fma_f64 v[80:81], v[108:109], v[76:77], v[80:81]
	v_mul_f64 v[78:79], v[126:127], v[56:57]
	v_fma_f64 v[74:75], v[112:113], v[74:75], -v[86:87]
	v_fma_f64 v[76:77], v[96:97], v[64:65], v[156:157]
	v_fma_f64 v[66:67], v[96:97], v[66:67], -v[158:159]
	v_mul_f64 v[156:157], v[118:119], v[50:51]
	v_fma_f64 v[64:65], v[140:141], v[68:69], v[160:161]
	v_mul_f64 v[158:159], v[118:119], v[48:49]
	v_mul_f64 v[160:161], v[90:91], v[42:43]
	v_fma_f64 v[60:61], v[104:105], v[60:61], v[162:163]
	v_mul_f64 v[162:163], v[90:91], v[40:41]
	s_mov_b32 s5, 0xbfe5384d
	s_mov_b32 s3, 0xbfcea1e5
	v_fma_f64 v[62:63], v[104:105], v[62:63], -v[164:165]
	v_mul_f64 v[164:165], v[138:139], v[38:39]
	v_fma_f64 v[56:57], v[124:125], v[56:57], v[166:167]
	v_mul_f64 v[166:167], v[138:139], v[36:37]
	v_mul_f64 v[172:173], v[134:135], v[34:35]
	;; [unrolled: 1-line block ×3, first 2 shown]
	s_mov_b32 s18, 0xe00740e9
	v_fma_f64 v[54:55], v[100:101], v[54:55], -v[84:85]
	v_add_f64 v[84:85], v[82:83], -v[70:71]
	s_mov_b32 s24, 0x1ea71119
	v_fma_f64 v[58:59], v[124:125], v[58:59], -v[78:79]
	s_mov_b32 s26, 0xebaa3ed8
	s_mov_b32 s28, 0xb2365da1
	s_mov_b32 s22, 0xd0032e0c
	s_mov_b32 s20, 0x93053d00
	s_mov_b32 s19, 0x3fec55a7
	s_mov_b32 s25, 0x3fe22d96
	v_fma_f64 v[160:161], v[88:89], v[40:41], v[160:161]
	s_mov_b32 s27, 0x3fbedb7d
	v_fma_f64 v[162:163], v[88:89], v[42:43], -v[162:163]
	s_mov_b32 s29, 0xbfd6b1d8
	s_mov_b32 s23, 0xbfe7f3cc
	;; [unrolled: 1-line block ×3, first 2 shown]
	v_fma_f64 v[52:53], v[100:101], v[52:53], v[168:169]
	v_fma_f64 v[168:169], v[136:137], v[36:37], v[164:165]
	v_fma_f64 v[170:171], v[136:137], v[38:39], -v[166:167]
	v_fma_f64 v[172:173], v[132:133], v[32:33], v[172:173]
	v_fma_f64 v[174:175], v[132:133], v[34:35], -v[174:175]
	v_add_f64 v[182:183], v[80:81], -v[64:65]
	s_mov_b32 s31, 0x3fddbe06
	v_mul_f64 v[40:41], v[84:85], s[16:17]
	v_mul_f64 v[42:43], v[84:85], s[14:15]
	s_mov_b32 s30, s40
	s_mov_b32 s43, 0x3fcea1e5
	;; [unrolled: 1-line block ×9, first 2 shown]
	v_add_f64 v[204:205], v[30:31], v[82:83]
	v_add_f64 v[198:199], v[74:75], v[62:63]
	;; [unrolled: 1-line block ×3, first 2 shown]
	v_add_f64 v[200:201], v[66:67], -v[54:55]
	v_add_f64 v[212:213], v[66:67], v[54:55]
	v_add_f64 v[244:245], v[160:161], v[168:169]
	v_add_f64 v[242:243], v[162:163], -v[170:171]
	v_add_f64 v[248:249], v[162:163], v[170:171]
	v_mov_b32_e32 v20, v136
	v_mov_b32_e32 v21, v137
	;; [unrolled: 1-line block ×5, first 2 shown]
	v_add_f64 v[250:251], v[160:161], -v[168:169]
	v_mov_b32_e32 v138, v90
	v_mov_b32_e32 v137, v89
	;; [unrolled: 1-line block ×14, first 2 shown]
	v_mul_f64 v[246:247], v[242:243], s[2:3]
	v_mul_f64 v[88:89], v[248:249], s[20:21]
	;; [unrolled: 1-line block ×3, first 2 shown]
	v_mov_b32_e32 v253, v117
	v_mov_b32_e32 v252, v116
	;; [unrolled: 1-line block ×5, first 2 shown]
	v_mul_f64 v[132:133], v[242:243], s[4:5]
	v_mul_f64 v[206:207], v[242:243], s[12:13]
	v_fma_f64 v[114:115], v[250:251], s[40:41], v[112:113]
	s_waitcnt vmcnt(0)
	v_mul_f64 v[86:87], v[122:123], v[46:47]
	v_mul_f64 v[94:95], v[122:123], v[44:45]
	v_fma_f64 v[68:69], v[120:121], v[44:45], v[86:87]
	v_fma_f64 v[78:79], v[120:121], v[46:47], -v[94:95]
	v_fma_f64 v[44:45], v[116:117], v[48:49], v[156:157]
	v_fma_f64 v[46:47], v[116:117], v[50:51], -v[158:159]
	v_add_f64 v[48:49], v[80:81], v[64:65]
	v_mul_f64 v[50:51], v[84:85], s[40:41]
	v_mul_f64 v[86:87], v[84:85], s[12:13]
	;; [unrolled: 1-line block ×5, first 2 shown]
	v_add_f64 v[216:217], v[68:69], v[172:173]
	v_add_f64 v[234:235], v[78:79], -v[174:175]
	v_add_f64 v[210:211], v[56:57], -v[44:45]
	;; [unrolled: 1-line block ×3, first 2 shown]
	v_fma_f64 v[36:37], v[48:49], s[24:25], v[40:41]
	v_fma_f64 v[32:33], v[48:49], s[18:19], v[50:51]
	v_fma_f64 v[34:35], v[48:49], s[18:19], -v[50:51]
	v_fma_f64 v[38:39], v[48:49], s[24:25], -v[40:41]
	v_fma_f64 v[40:41], v[48:49], s[26:27], v[42:43]
	v_fma_f64 v[42:43], v[48:49], s[26:27], -v[42:43]
	v_fma_f64 v[50:51], v[48:49], s[28:29], v[86:87]
	;; [unrolled: 2-line block ×4, first 2 shown]
	v_fma_f64 v[84:85], v[48:49], s[20:21], -v[84:85]
	v_add_f64 v[48:49], v[82:83], v[70:71]
	v_add_f64 v[236:237], v[78:79], v[174:175]
	v_add_f64 v[238:239], v[68:69], -v[172:173]
	v_mul_f64 v[220:221], v[234:235], s[4:5]
	v_mul_f64 v[124:125], v[234:235], s[16:17]
	v_add_f64 v[226:227], v[28:29], v[36:37]
	v_add_f64 v[80:81], v[28:29], v[32:33]
	;; [unrolled: 1-line block ×3, first 2 shown]
	buffer_store_dword v12, off, s[48:51], 0 offset:56 ; 4-byte Folded Spill
	buffer_store_dword v13, off, s[48:51], 0 offset:60 ; 4-byte Folded Spill
	v_mul_f64 v[164:165], v[48:49], s[18:19]
	v_mul_f64 v[166:167], v[48:49], s[24:25]
	v_mul_f64 v[176:177], v[48:49], s[26:27]
	v_mul_f64 v[178:179], v[48:49], s[28:29]
	v_mul_f64 v[180:181], v[48:49], s[22:23]
	v_mul_f64 v[48:49], v[48:49], s[20:21]
	v_add_f64 v[230:231], v[28:29], v[40:41]
	v_add_f64 v[40:41], v[28:29], v[42:43]
	;; [unrolled: 1-line block ×6, first 2 shown]
	v_add_f64 v[156:157], v[72:73], -v[60:61]
	v_mul_f64 v[158:159], v[200:201], s[14:15]
	v_add_f64 v[94:95], v[58:59], v[46:47]
	v_mul_f64 v[240:241], v[236:237], s[22:23]
	v_fma_f64 v[126:127], v[216:217], s[24:25], v[124:125]
	v_fma_f64 v[184:185], v[182:183], s[30:31], v[164:165]
	;; [unrolled: 1-line block ×13, first 2 shown]
	v_add_f64 v[48:49], v[28:29], v[86:87]
	v_mul_f64 v[214:215], v[94:95], s[28:29]
	v_mul_f64 v[104:105], v[94:95], s[22:23]
	v_add_f64 v[82:83], v[30:31], v[184:185]
	v_add_f64 v[12:13], v[30:31], v[164:165]
	buffer_store_dword v12, off, s[48:51], 0 offset:64 ; 4-byte Folded Spill
	buffer_store_dword v13, off, s[48:51], 0 offset:68 ; 4-byte Folded Spill
	v_add_f64 v[12:13], v[28:29], v[38:39]
	v_add_f64 v[134:135], v[30:31], v[192:193]
	;; [unrolled: 1-line block ×3, first 2 shown]
	v_add_f64 v[196:197], v[74:75], -v[62:63]
	buffer_store_dword v12, off, s[48:51], 0 offset:548 ; 4-byte Folded Spill
	buffer_store_dword v13, off, s[48:51], 0 offset:552 ; 4-byte Folded Spill
	v_add_f64 v[228:229], v[30:31], v[186:187]
	v_add_f64 v[12:13], v[30:31], v[166:167]
	;; [unrolled: 1-line block ×9, first 2 shown]
	v_mul_f64 v[164:165], v[196:197], s[16:17]
	v_add_f64 v[190:191], v[28:29], v[84:85]
	v_mul_f64 v[166:167], v[198:199], s[24:25]
	v_add_f64 v[184:185], v[76:77], -v[52:53]
	v_mul_f64 v[186:187], v[212:213], s[26:27]
	v_add_f64 v[180:181], v[56:57], v[44:45]
	v_mul_f64 v[182:183], v[218:219], s[12:13]
	buffer_store_dword v12, off, s[48:51], 0 offset:556 ; 4-byte Folded Spill
	buffer_store_dword v13, off, s[48:51], 0 offset:560 ; 4-byte Folded Spill
	;; [unrolled: 1-line block ×6, first 2 shown]
	v_mul_f64 v[96:97], v[198:199], s[28:29]
	buffer_store_dword v100, off, s[48:51], 0 offset:580 ; 4-byte Folded Spill
	buffer_store_dword v101, off, s[48:51], 0 offset:584 ; 4-byte Folded Spill
	buffer_store_dword v102, off, s[48:51], 0 offset:588 ; 4-byte Folded Spill
	buffer_store_dword v103, off, s[48:51], 0 offset:592 ; 4-byte Folded Spill
	v_mul_f64 v[90:91], v[196:197], s[12:13]
	v_mul_f64 v[100:101], v[212:213], s[20:21]
	;; [unrolled: 1-line block ×3, first 2 shown]
	v_mov_b32_e32 v12, v140
	v_fma_f64 v[28:29], v[30:31], s[24:25], v[164:165]
	v_mov_b32_e32 v13, v141
	v_mov_b32_e32 v14, v142
	;; [unrolled: 1-line block ×4, first 2 shown]
	v_fma_f64 v[106:107], v[210:211], s[4:5], v[104:105]
	v_mov_b32_e32 v142, v110
	v_mov_b32_e32 v141, v109
	;; [unrolled: 1-line block ×3, first 2 shown]
	v_mul_f64 v[108:109], v[236:237], s[26:27]
	v_add_f64 v[74:75], v[204:205], v[74:75]
	v_add_f64 v[72:73], v[202:203], v[72:73]
	v_mov_b32_e32 v179, v123
	v_mov_b32_e32 v178, v122
	;; [unrolled: 1-line block ×4, first 2 shown]
	v_fma_f64 v[86:87], v[156:157], s[44:45], v[96:97]
	v_mul_f64 v[120:121], v[218:219], s[30:31]
	v_fma_f64 v[118:119], v[184:185], s[12:13], v[116:117]
	v_fma_f64 v[102:103], v[184:185], s[42:43], v[100:101]
	v_mul_f64 v[202:203], v[218:219], s[42:43]
	v_mul_f64 v[204:205], v[94:95], s[20:21]
	v_add_f64 v[80:81], v[28:29], v[80:81]
	v_fma_f64 v[28:29], v[156:157], s[34:35], v[166:167]
	v_fma_f64 v[164:165], v[30:31], s[24:25], -v[164:165]
	v_fma_f64 v[166:167], v[156:157], s[16:17], v[166:167]
	v_fma_f64 v[96:97], v[156:157], s[12:13], v[96:97]
	;; [unrolled: 1-line block ×5, first 2 shown]
	v_add_f64 v[66:67], v[74:75], v[66:67]
	v_add_f64 v[72:73], v[72:73], v[76:77]
	v_mul_f64 v[74:75], v[212:213], s[18:19]
	v_add_f64 v[86:87], v[86:87], v[228:229]
	v_fma_f64 v[122:123], v[180:181], s[18:19], v[120:121]
	v_add_f64 v[82:83], v[28:29], v[82:83]
	v_add_f64 v[28:29], v[76:77], v[52:53]
	v_mul_f64 v[76:77], v[218:219], s[14:15]
	v_add_f64 v[58:59], v[66:67], v[58:59]
	v_add_f64 v[56:57], v[72:73], v[56:57]
	v_mul_f64 v[72:73], v[200:201], s[30:31]
	v_mul_f64 v[66:67], v[198:199], s[18:19]
	v_add_f64 v[86:87], v[102:103], v[86:87]
	v_mul_f64 v[102:103], v[218:219], s[38:39]
	v_fma_f64 v[84:85], v[28:29], s[26:27], v[158:159]
	v_add_f64 v[58:59], v[58:59], v[78:79]
	v_add_f64 v[56:57], v[56:57], v[68:69]
	v_mul_f64 v[68:69], v[196:197], s[38:39]
	v_mul_f64 v[78:79], v[94:95], s[26:27]
	v_add_f64 v[86:87], v[106:107], v[86:87]
	v_mul_f64 v[106:107], v[234:235], s[36:37]
	v_add_f64 v[80:81], v[84:85], v[80:81]
	v_fma_f64 v[84:85], v[184:185], s[36:37], v[186:187]
	v_add_f64 v[58:59], v[58:59], v[162:163]
	v_add_f64 v[56:57], v[56:57], v[160:161]
	v_mul_f64 v[160:161], v[236:237], s[20:21]
	v_mul_f64 v[162:163], v[242:243], s[34:35]
	v_add_f64 v[86:87], v[110:111], v[86:87]
	v_mul_f64 v[110:111], v[242:243], s[30:31]
	v_add_f64 v[82:83], v[84:85], v[82:83]
	;; [unrolled: 8-line block ×3, first 2 shown]
	v_fma_f64 v[84:85], v[210:211], s[44:45], v[214:215]
	v_add_f64 v[58:59], v[58:59], v[174:175]
	v_add_f64 v[56:57], v[56:57], v[172:173]
	v_mul_f64 v[172:173], v[198:199], s[26:27]
	v_mul_f64 v[174:175], v[212:213], s[24:25]
	v_add_f64 v[82:83], v[84:85], v[82:83]
	v_fma_f64 v[84:85], v[216:217], s[22:23], v[220:221]
	v_add_f64 v[46:47], v[58:59], v[46:47]
	v_add_f64 v[44:45], v[56:57], v[44:45]
	v_fma_f64 v[56:57], v[28:29], s[18:19], v[72:73]
	v_add_f64 v[80:81], v[84:85], v[80:81]
	v_fma_f64 v[84:85], v[238:239], s[38:39], v[240:241]
	v_add_f64 v[46:47], v[46:47], v[54:55]
	v_add_f64 v[44:45], v[44:45], v[52:53]
	v_fma_f64 v[52:53], v[30:31], s[22:23], v[68:69]
	v_add_f64 v[82:83], v[84:85], v[82:83]
	v_fma_f64 v[84:85], v[244:245], s[20:21], v[246:247]
	v_add_f64 v[46:47], v[46:47], v[62:63]
	v_add_f64 v[44:45], v[44:45], v[60:61]
	;; [unrolled: 1-line block ×3, first 2 shown]
	v_mul_f64 v[224:225], v[236:237], s[18:19]
	v_fma_f64 v[62:63], v[156:157], s[40:41], v[66:67]
	v_fma_f64 v[66:67], v[156:157], s[30:31], v[66:67]
	v_add_f64 v[80:81], v[84:85], v[80:81]
	v_fma_f64 v[84:85], v[250:251], s[42:43], v[88:89]
	v_add_f64 v[46:47], v[46:47], v[70:71]
	v_mul_f64 v[70:71], v[198:199], s[22:23]
	v_add_f64 v[52:53], v[56:57], v[52:53]
	v_fma_f64 v[56:57], v[184:185], s[40:41], v[74:75]
	v_add_f64 v[44:45], v[44:45], v[64:65]
	v_mul_f64 v[64:65], v[196:197], s[30:31]
	v_add_f64 v[62:63], v[62:63], v[192:193]
	v_mul_f64 v[192:193], v[200:201], s[4:5]
	v_add_f64 v[66:67], v[66:67], v[188:189]
	v_fma_f64 v[74:75], v[184:185], s[30:31], v[74:75]
	v_fma_f64 v[88:89], v[250:251], s[2:3], v[88:89]
	v_add_f64 v[82:83], v[84:85], v[82:83]
	v_fma_f64 v[84:85], v[30:31], s[28:29], v[90:91]
	v_fma_f64 v[54:55], v[156:157], s[4:5], v[70:71]
	v_fma_f64 v[90:91], v[30:31], s[28:29], -v[90:91]
	v_fma_f64 v[70:71], v[156:157], s[38:39], v[70:71]
	v_fma_f64 v[188:189], v[28:29], s[22:23], -v[192:193]
	v_add_f64 v[84:85], v[84:85], v[226:227]
	v_fma_f64 v[226:227], v[28:29], s[20:21], v[98:99]
	v_add_f64 v[54:55], v[54:55], v[222:223]
	v_mul_f64 v[222:223], v[234:235], s[30:31]
	v_fma_f64 v[98:99], v[28:29], s[20:21], -v[98:99]
	v_add_f64 v[84:85], v[226:227], v[84:85]
	v_fma_f64 v[226:227], v[180:181], s[22:23], v[102:103]
	v_add_f64 v[54:55], v[56:57], v[54:55]
	v_fma_f64 v[56:57], v[180:181], s[26:27], v[76:77]
	v_fma_f64 v[76:77], v[180:181], s[26:27], -v[76:77]
	v_add_f64 v[84:85], v[226:227], v[84:85]
	v_fma_f64 v[226:227], v[216:217], s[26:27], v[106:107]
	v_add_f64 v[52:53], v[56:57], v[52:53]
	v_fma_f64 v[56:57], v[210:211], s[36:37], v[78:79]
	v_fma_f64 v[78:79], v[210:211], s[14:15], v[78:79]
	v_add_f64 v[84:85], v[226:227], v[84:85]
	v_fma_f64 v[226:227], v[244:245], s[18:19], v[110:111]
	v_add_f64 v[54:55], v[56:57], v[54:55]
	v_add_f64 v[84:85], v[226:227], v[84:85]
	v_fma_f64 v[226:227], v[30:31], s[20:21], v[114:115]
	v_fma_f64 v[114:115], v[30:31], s[20:21], -v[114:115]
	v_add_f64 v[226:227], v[226:227], v[230:231]
	v_mul_f64 v[230:231], v[198:199], s[20:21]
	v_add_f64 v[40:41], v[114:115], v[40:41]
	v_fma_f64 v[228:229], v[156:157], s[42:43], v[230:231]
	v_add_f64 v[228:229], v[228:229], v[232:233]
	v_mul_f64 v[232:233], v[200:201], s[44:45]
	v_add_f64 v[118:119], v[118:119], v[228:229]
	v_fma_f64 v[32:33], v[28:29], s[28:29], v[232:233]
	v_add_f64 v[32:33], v[32:33], v[226:227]
	v_add_f64 v[32:33], v[122:123], v[32:33]
	v_mul_f64 v[122:123], v[94:95], s[18:19]
	v_mul_f64 v[94:95], v[94:95], s[24:25]
	v_add_f64 v[32:33], v[126:127], v[32:33]
	v_fma_f64 v[226:227], v[210:211], s[40:41], v[122:123]
	v_mul_f64 v[126:127], v[236:237], s[24:25]
	v_add_f64 v[118:119], v[226:227], v[118:119]
	v_fma_f64 v[226:227], v[238:239], s[34:35], v[126:127]
	v_add_f64 v[118:119], v[226:227], v[118:119]
	v_fma_f64 v[226:227], v[244:245], s[22:23], v[132:133]
	v_add_f64 v[226:227], v[226:227], v[32:33]
	v_mul_f64 v[32:33], v[248:249], s[22:23]
	v_fma_f64 v[228:229], v[250:251], s[38:39], v[32:33]
	v_add_f64 v[228:229], v[228:229], v[118:119]
	v_mul_f64 v[118:119], v[234:235], s[42:43]
	v_fma_f64 v[56:57], v[216:217], s[20:21], v[118:119]
	v_add_f64 v[52:53], v[56:57], v[52:53]
	v_fma_f64 v[56:57], v[238:239], s[2:3], v[160:161]
	v_add_f64 v[54:55], v[56:57], v[54:55]
	;; [unrolled: 2-line block ×6, first 2 shown]
	v_mul_f64 v[134:135], v[200:201], s[16:17]
	v_fma_f64 v[58:59], v[28:29], s[24:25], v[134:135]
	v_fma_f64 v[134:135], v[28:29], s[24:25], -v[134:135]
	v_add_f64 v[34:35], v[58:59], v[34:35]
	v_fma_f64 v[58:59], v[184:185], s[34:35], v[174:175]
	v_add_f64 v[56:57], v[58:59], v[56:57]
	v_fma_f64 v[58:59], v[180:181], s[20:21], v[202:203]
	v_add_f64 v[34:35], v[58:59], v[34:35]
	v_fma_f64 v[58:59], v[210:211], s[2:3], v[204:205]
	v_add_f64 v[56:57], v[58:59], v[56:57]
	v_fma_f64 v[58:59], v[216:217], s[18:19], v[222:223]
	v_add_f64 v[34:35], v[58:59], v[34:35]
	v_fma_f64 v[58:59], v[238:239], s[40:41], v[224:225]
	v_add_f64 v[58:59], v[58:59], v[56:57]
	v_fma_f64 v[56:57], v[244:245], s[28:29], v[206:207]
	v_add_f64 v[56:57], v[56:57], v[34:35]
	v_mul_f64 v[34:35], v[248:249], s[28:29]
	v_fma_f64 v[60:61], v[250:251], s[44:45], v[34:35]
	v_add_f64 v[58:59], v[60:61], v[58:59]
	v_fma_f64 v[60:61], v[30:31], s[18:19], v[64:65]
	v_fma_f64 v[64:65], v[30:31], s[18:19], -v[64:65]
	v_add_f64 v[60:61], v[60:61], v[194:195]
	v_fma_f64 v[194:195], v[28:29], s[22:23], v[192:193]
	v_add_f64 v[64:65], v[64:65], v[190:191]
	v_add_f64 v[60:61], v[194:195], v[60:61]
	v_mul_f64 v[194:195], v[212:213], s[22:23]
	v_add_f64 v[64:65], v[188:189], v[64:65]
	v_mul_f64 v[212:213], v[248:249], s[26:27]
	v_fma_f64 v[196:197], v[184:185], s[38:39], v[194:195]
	v_fma_f64 v[188:189], v[184:185], s[4:5], v[194:195]
	v_add_f64 v[62:63], v[196:197], v[62:63]
	v_mul_f64 v[196:197], v[218:219], s[34:35]
	v_add_f64 v[66:67], v[188:189], v[66:67]
	v_fma_f64 v[198:199], v[180:181], s[24:25], v[196:197]
	v_fma_f64 v[188:189], v[180:181], s[24:25], -v[196:197]
	v_add_f64 v[60:61], v[198:199], v[60:61]
	v_fma_f64 v[198:199], v[210:211], s[16:17], v[94:95]
	v_fma_f64 v[94:95], v[210:211], s[34:35], v[94:95]
	v_add_f64 v[64:65], v[188:189], v[64:65]
	v_fma_f64 v[188:189], v[250:251], s[36:37], v[212:213]
	v_add_f64 v[62:63], v[198:199], v[62:63]
	v_mul_f64 v[198:199], v[234:235], s[12:13]
	v_add_f64 v[66:67], v[94:95], v[66:67]
	v_fma_f64 v[200:201], v[216:217], s[28:29], v[198:199]
	v_fma_f64 v[94:95], v[216:217], s[28:29], -v[198:199]
	v_add_f64 v[60:61], v[200:201], v[60:61]
	v_mul_f64 v[200:201], v[236:237], s[28:29]
	v_add_f64 v[64:65], v[94:95], v[64:65]
	v_fma_f64 v[208:209], v[238:239], s[44:45], v[200:201]
	v_fma_f64 v[94:95], v[238:239], s[12:13], v[200:201]
	v_add_f64 v[62:63], v[208:209], v[62:63]
	v_mul_f64 v[208:209], v[242:243], s[36:37]
	v_add_f64 v[66:67], v[94:95], v[66:67]
	v_fma_f64 v[94:95], v[244:245], s[26:27], -v[208:209]
	v_fma_f64 v[218:219], v[244:245], s[26:27], v[208:209]
	v_add_f64 v[66:67], v[188:189], v[66:67]
	v_add_f64 v[64:65], v[94:95], v[64:65]
	v_fma_f64 v[94:95], v[30:31], s[26:27], -v[170:171]
	v_fma_f64 v[30:31], v[30:31], s[22:23], -v[68:69]
	v_fma_f64 v[68:69], v[156:157], s[36:37], v[172:173]
	v_fma_f64 v[170:171], v[156:157], s[2:3], v[230:231]
	v_fma_f64 v[156:157], v[28:29], s[26:27], -v[158:159]
	v_fma_f64 v[158:159], v[28:29], s[28:29], -v[232:233]
	v_fma_f64 v[28:29], v[28:29], s[18:19], -v[72:73]
	v_fma_f64 v[72:73], v[184:185], s[16:17], v[174:175]
	v_fma_f64 v[172:173], v[184:185], s[14:15], v[186:187]
	v_add_f64 v[60:61], v[218:219], v[60:61]
	v_fma_f64 v[218:219], v[250:251], s[14:15], v[212:213]
	v_add_f64 v[94:95], v[94:95], v[36:37]
	s_clause 0x1
	buffer_load_dword v36, off, s[48:51], 0 offset:56
	buffer_load_dword v37, off, s[48:51], 0 offset:60
	v_add_f64 v[68:69], v[68:69], v[38:39]
	v_add_f64 v[42:43], v[170:171], v[42:43]
	;; [unrolled: 1-line block ×7, first 2 shown]
	v_fma_f64 v[94:95], v[180:181], s[18:19], -v[120:121]
	v_add_f64 v[68:69], v[72:73], v[68:69]
	v_add_f64 v[42:43], v[116:117], v[42:43]
	;; [unrolled: 1-line block ×4, first 2 shown]
	v_fma_f64 v[48:49], v[180:181], s[20:21], -v[202:203]
	v_fma_f64 v[74:75], v[180:181], s[28:29], -v[182:183]
	v_add_f64 v[40:41], v[94:95], v[40:41]
	v_fma_f64 v[94:95], v[238:239], s[30:31], v[224:225]
	v_add_f64 v[28:29], v[76:77], v[28:29]
	v_add_f64 v[30:31], v[78:79], v[30:31]
	;; [unrolled: 1-line block ×3, first 2 shown]
	v_fma_f64 v[78:79], v[216:217], s[24:25], -v[124:125]
	v_fma_f64 v[76:77], v[216:217], s[26:27], -v[106:107]
	v_add_f64 v[40:41], v[78:79], v[40:41]
	v_fma_f64 v[78:79], v[244:245], s[18:19], -v[110:111]
	s_waitcnt vmcnt(0)
	v_add_f64 v[164:165], v[164:165], v[36:37]
	s_clause 0x1
	buffer_load_dword v36, off, s[48:51], 0 offset:64
	buffer_load_dword v37, off, s[48:51], 0 offset:68
	v_add_f64 v[70:71], v[156:157], v[164:165]
	s_waitcnt vmcnt(0)
	v_add_f64 v[166:167], v[166:167], v[36:37]
	s_clause 0x3
	buffer_load_dword v36, off, s[48:51], 0 offset:548
	buffer_load_dword v37, off, s[48:51], 0 offset:552
	;; [unrolled: 1-line block ×4, first 2 shown]
	s_waitcnt vmcnt(0)
	s_waitcnt_vscnt null, 0x0
	s_barrier
	buffer_gl0_inv
	v_add_f64 v[72:73], v[172:173], v[166:167]
	v_add_f64 v[36:37], v[90:91], v[36:37]
	;; [unrolled: 1-line block ×3, first 2 shown]
	v_fma_f64 v[90:91], v[180:181], s[22:23], -v[102:103]
	v_fma_f64 v[96:97], v[210:211], s[42:43], v[204:205]
	v_fma_f64 v[102:103], v[210:211], s[30:31], v[122:123]
	v_add_f64 v[36:37], v[98:99], v[36:37]
	v_fma_f64 v[98:99], v[210:211], s[12:13], v[214:215]
	v_add_f64 v[38:39], v[100:101], v[38:39]
	;; [unrolled: 2-line block ×3, first 2 shown]
	v_add_f64 v[68:69], v[74:75], v[70:71]
	v_add_f64 v[42:43], v[102:103], v[42:43]
	v_fma_f64 v[74:75], v[216:217], s[22:23], -v[220:221]
	v_fma_f64 v[102:103], v[238:239], s[42:43], v[160:161]
	v_fma_f64 v[96:97], v[238:239], s[4:5], v[240:241]
	v_add_f64 v[36:37], v[90:91], v[36:37]
	v_add_f64 v[70:71], v[98:99], v[72:73]
	v_fma_f64 v[72:73], v[216:217], s[18:19], -v[222:223]
	v_fma_f64 v[90:91], v[216:217], s[20:21], -v[118:119]
	v_add_f64 v[38:39], v[100:101], v[38:39]
	v_fma_f64 v[100:101], v[238:239], s[16:17], v[126:127]
	v_fma_f64 v[98:99], v[238:239], s[36:37], v[108:109]
	v_add_f64 v[50:51], v[94:95], v[50:51]
	v_add_f64 v[68:69], v[74:75], v[68:69]
	;; [unrolled: 1-line block ×3, first 2 shown]
	v_fma_f64 v[30:31], v[250:251], s[12:13], v[34:35]
	v_fma_f64 v[94:95], v[244:245], s[24:25], -v[162:163]
	v_fma_f64 v[34:35], v[250:251], s[34:35], v[168:169]
	v_add_f64 v[36:37], v[76:77], v[36:37]
	v_add_f64 v[70:71], v[96:97], v[70:71]
	v_add_f64 v[48:49], v[72:73], v[48:49]
	v_add_f64 v[72:73], v[90:91], v[28:29]
	v_fma_f64 v[28:29], v[244:245], s[28:29], -v[206:207]
	v_add_f64 v[42:43], v[100:101], v[42:43]
	v_fma_f64 v[90:91], v[244:245], s[22:23], -v[132:133]
	v_fma_f64 v[96:97], v[250:251], s[4:5], v[32:33]
	v_add_f64 v[38:39], v[98:99], v[38:39]
	v_fma_f64 v[98:99], v[250:251], s[30:31], v[112:113]
	v_fma_f64 v[76:77], v[244:245], s[20:21], -v[246:247]
	v_add_f64 v[30:31], v[30:31], v[50:51]
	v_add_f64 v[50:51], v[34:35], v[74:75]
	;; [unrolled: 1-line block ×10, first 2 shown]
	ds_write_b128 v93, v[44:47]
	ds_write_b128 v93, v[80:83] offset:64
	ds_write_b128 v93, v[84:87] offset:128
	ds_write_b128 v93, v[226:229] offset:192
	ds_write_b128 v93, v[52:55] offset:256
	ds_write_b128 v93, v[56:59] offset:320
	ds_write_b128 v93, v[60:63] offset:384
	ds_write_b128 v93, v[64:67] offset:448
	ds_write_b128 v93, v[28:31] offset:512
	ds_write_b128 v93, v[48:51] offset:576
	ds_write_b128 v93, v[40:43] offset:640
	ds_write_b128 v93, v[36:39] offset:704
	ds_write_b128 v93, v[32:35] offset:768
	s_and_saveexec_b32 s1, s0
	s_cbranch_execz .LBB0_29
; %bb.28:
	s_clause 0x3
	buffer_load_dword v46, off, s[48:51], 0 offset:144
	buffer_load_dword v47, off, s[48:51], 0 offset:148
	;; [unrolled: 1-line block ×4, first 2 shown]
	v_mul_f64 v[28:29], v[142:143], v[26:27]
	v_mul_f64 v[30:31], v[142:143], v[24:25]
	s_clause 0x7
	buffer_load_dword v68, off, s[48:51], 0 offset:112
	buffer_load_dword v69, off, s[48:51], 0 offset:116
	;; [unrolled: 1-line block ×8, first 2 shown]
	v_mul_f64 v[36:37], v[146:147], v[6:7]
	v_mul_f64 v[38:39], v[146:147], v[4:5]
	v_mul_f64 v[56:57], v[150:151], v[2:3]
	v_mul_f64 v[66:67], v[150:151], v[0:1]
	v_fma_f64 v[58:59], v[140:141], v[24:25], v[28:29]
	v_fma_f64 v[60:61], v[140:141], v[26:27], -v[30:31]
	v_mul_f64 v[28:29], v[138:139], v[10:11]
	v_mul_f64 v[30:31], v[138:139], v[8:9]
	v_fma_f64 v[36:37], v[144:145], v[4:5], v[36:37]
	v_fma_f64 v[40:41], v[144:145], v[6:7], -v[38:39]
	v_fma_f64 v[28:29], v[136:137], v[8:9], v[28:29]
	v_fma_f64 v[30:31], v[136:137], v[10:11], -v[30:31]
	s_waitcnt vmcnt(8)
	v_mul_f64 v[32:33], v[14:15], v[48:49]
	v_mul_f64 v[34:35], v[14:15], v[46:47]
	s_waitcnt vmcnt(4)
	v_mul_f64 v[42:43], v[154:155], v[70:71]
	v_mul_f64 v[44:45], v[154:155], v[68:69]
	v_fma_f64 v[24:25], v[12:13], v[46:47], v[32:33]
	v_fma_f64 v[26:27], v[12:13], v[48:49], -v[34:35]
	s_clause 0x1b
	buffer_load_dword v12, off, s[48:51], 0 offset:40
	buffer_load_dword v13, off, s[48:51], 0 offset:44
	;; [unrolled: 1-line block ×28, first 2 shown]
	s_waitcnt vmcnt(28)
	v_mul_f64 v[32:33], v[22:23], v[88:89]
	v_mul_f64 v[34:35], v[22:23], v[86:87]
	v_fma_f64 v[4:5], v[152:153], v[68:69], v[42:43]
	v_fma_f64 v[6:7], v[152:153], v[70:71], -v[44:45]
	v_add_f64 v[46:47], v[58:59], -v[24:25]
	v_add_f64 v[44:45], v[60:61], -v[26:27]
	v_fma_f64 v[135:136], v[20:21], v[86:87], v[32:33]
	v_fma_f64 v[22:23], v[20:21], v[88:89], -v[34:35]
	v_add_f64 v[174:175], v[28:29], v[135:136]
	v_add_f64 v[168:169], v[30:31], v[22:23]
	s_waitcnt vmcnt(24)
	v_mul_f64 v[48:49], v[178:179], v[14:15]
	s_waitcnt vmcnt(20)
	v_mul_f64 v[50:51], v[103:104], v[18:19]
	v_mul_f64 v[52:53], v[178:179], v[12:13]
	;; [unrolled: 1-line block ×3, first 2 shown]
	s_waitcnt vmcnt(12)
	v_mul_f64 v[62:63], v[95:96], v[84:85]
	s_waitcnt vmcnt(4)
	v_mul_f64 v[64:65], v[99:100], v[76:77]
	;; [unrolled: 2-line block ×3, first 2 shown]
	v_mul_f64 v[68:69], v[254:255], v[78:79]
	v_mul_f64 v[70:71], v[95:96], v[82:83]
	;; [unrolled: 1-line block ×3, first 2 shown]
	v_fma_f64 v[32:33], v[176:177], v[12:13], v[48:49]
	v_fma_f64 v[10:11], v[101:102], v[16:17], v[50:51]
	v_fma_f64 v[34:35], v[176:177], v[14:15], -v[52:53]
	v_fma_f64 v[12:13], v[101:102], v[18:19], -v[54:55]
	v_fma_f64 v[18:19], v[148:149], v[0:1], v[56:57]
	v_fma_f64 v[42:43], v[93:94], v[82:83], v[62:63]
	;; [unrolled: 1-line block ×4, first 2 shown]
	v_fma_f64 v[38:39], v[148:149], v[2:3], -v[66:67]
	v_add_f64 v[16:17], v[36:37], -v[4:5]
	v_add_f64 v[50:51], v[60:61], v[26:27]
	v_add_f64 v[48:49], v[58:59], v[24:25]
	v_mul_f64 v[52:53], v[46:47], s[2:3]
	v_mul_f64 v[54:55], v[44:45], s[2:3]
	v_fma_f64 v[2:3], v[252:253], v[80:81], -v[68:69]
	v_fma_f64 v[64:65], v[93:94], v[84:85], -v[70:71]
	v_mul_f64 v[66:67], v[46:47], s[4:5]
	v_mul_f64 v[68:69], v[44:45], s[4:5]
	v_fma_f64 v[56:57], v[97:98], v[76:77], -v[72:73]
	v_mul_f64 v[72:73], v[46:47], s[12:13]
	v_mul_f64 v[74:75], v[44:45], s[12:13]
	;; [unrolled: 1-line block ×8, first 2 shown]
	v_add_f64 v[14:15], v[40:41], -v[6:7]
	v_add_f64 v[70:71], v[40:41], v[6:7]
	v_add_f64 v[80:81], v[42:43], -v[0:1]
	v_add_f64 v[62:63], v[36:37], v[4:5]
	v_mul_f64 v[86:87], v[16:17], s[30:31]
	v_add_f64 v[125:126], v[42:43], v[0:1]
	v_add_f64 v[58:59], v[128:129], v[58:59]
	v_fma_f64 v[90:91], v[50:51], s[20:21], v[52:53]
	v_fma_f64 v[93:94], v[48:49], s[20:21], -v[54:55]
	v_fma_f64 v[52:53], v[50:51], s[20:21], -v[52:53]
	v_fma_f64 v[54:55], v[48:49], s[20:21], v[54:55]
	v_fma_f64 v[95:96], v[50:51], s[22:23], v[66:67]
	v_fma_f64 v[97:98], v[48:49], s[22:23], -v[68:69]
	v_fma_f64 v[66:67], v[50:51], s[22:23], -v[66:67]
	v_fma_f64 v[68:69], v[48:49], s[22:23], v[68:69]
	;; [unrolled: 4-line block ×4, first 2 shown]
	v_fma_f64 v[107:108], v[50:51], s[24:25], -v[82:83]
	v_fma_f64 v[109:110], v[50:51], s[18:19], -v[46:47]
	v_fma_f64 v[111:112], v[48:49], s[18:19], v[84:85]
	v_fma_f64 v[82:83], v[50:51], s[24:25], v[82:83]
	;; [unrolled: 1-line block ×4, first 2 shown]
	v_fma_f64 v[44:45], v[48:49], s[24:25], -v[44:45]
	v_fma_f64 v[48:49], v[48:49], s[18:19], -v[84:85]
	v_mul_f64 v[88:89], v[14:15], s[30:31]
	v_fma_f64 v[84:85], v[70:71], s[18:19], v[86:87]
	v_add_f64 v[90:91], v[130:131], v[90:91]
	v_add_f64 v[121:122], v[64:65], v[56:57]
	v_add_f64 v[123:124], v[64:65], -v[56:57]
	v_add_f64 v[93:94], v[128:129], v[93:94]
	v_add_f64 v[54:55], v[128:129], v[54:55]
	v_add_f64 v[97:98], v[128:129], v[97:98]
	v_add_f64 v[68:69], v[128:129], v[68:69]
	v_add_f64 v[101:102], v[128:129], v[101:102]
	v_add_f64 v[74:75], v[128:129], v[74:75]
	v_add_f64 v[105:106], v[128:129], v[105:106]
	v_add_f64 v[60:61], v[130:131], v[60:61]
	v_add_f64 v[78:79], v[128:129], v[78:79]
	v_add_f64 v[52:53], v[130:131], v[52:53]
	v_add_f64 v[95:96], v[130:131], v[95:96]
	v_add_f64 v[111:112], v[128:129], v[111:112]
	v_add_f64 v[66:67], v[130:131], v[66:67]
	v_add_f64 v[117:118], v[130:131], v[46:47]
	v_add_f64 v[113:114], v[128:129], v[50:51]
	v_add_f64 v[115:116], v[128:129], v[44:45]
	v_add_f64 v[119:120], v[128:129], v[48:49]
	v_mul_f64 v[48:49], v[80:81], s[4:5]
	v_fma_f64 v[44:45], v[62:63], s[18:19], -v[88:89]
	v_add_f64 v[46:47], v[84:85], v[90:91]
	v_add_f64 v[90:91], v[18:19], -v[8:9]
	v_mul_f64 v[84:85], v[123:124], s[4:5]
	v_add_f64 v[99:100], v[130:131], v[99:100]
	v_add_f64 v[72:73], v[130:131], v[72:73]
	;; [unrolled: 1-line block ×10, first 2 shown]
	v_fma_f64 v[86:87], v[70:71], s[18:19], -v[86:87]
	v_add_f64 v[40:41], v[60:61], v[40:41]
	v_add_f64 v[36:37], v[58:59], v[36:37]
	v_fma_f64 v[50:51], v[121:122], s[22:23], v[48:49]
	v_add_f64 v[44:45], v[44:45], v[93:94]
	v_add_f64 v[93:94], v[38:39], v[2:3]
	v_fma_f64 v[48:49], v[121:122], s[22:23], -v[48:49]
	v_add_f64 v[52:53], v[86:87], v[52:53]
	v_fma_f64 v[86:87], v[62:63], s[18:19], v[88:89]
	v_mul_f64 v[88:89], v[80:81], s[16:17]
	v_add_f64 v[36:37], v[36:37], v[42:43]
	v_add_f64 v[40:41], v[40:41], v[64:65]
	v_add_f64 v[46:47], v[50:51], v[46:47]
	v_fma_f64 v[50:51], v[125:126], s[22:23], -v[84:85]
	v_add_f64 v[48:49], v[48:49], v[52:53]
	v_add_f64 v[54:55], v[86:87], v[54:55]
	v_fma_f64 v[52:53], v[125:126], s[22:23], v[84:85]
	v_mul_f64 v[84:85], v[14:15], s[36:37]
	v_add_f64 v[18:19], v[36:37], v[18:19]
	v_add_f64 v[44:45], v[50:51], v[44:45]
	v_mul_f64 v[50:51], v[90:91], s[34:35]
	v_add_f64 v[52:53], v[52:53], v[54:55]
	v_fma_f64 v[86:87], v[62:63], s[26:27], -v[84:85]
	v_add_f64 v[18:19], v[18:19], v[32:33]
	v_fma_f64 v[127:128], v[93:94], s[24:25], v[50:51]
	v_fma_f64 v[50:51], v[93:94], s[24:25], -v[50:51]
	v_add_f64 v[86:87], v[86:87], v[97:98]
	v_add_f64 v[18:19], v[18:19], v[28:29]
	;; [unrolled: 1-line block ×3, first 2 shown]
	v_add_f64 v[127:128], v[38:39], -v[2:3]
	v_add_f64 v[48:49], v[50:51], v[48:49]
	v_add_f64 v[38:39], v[40:41], v[38:39]
	;; [unrolled: 1-line block ×3, first 2 shown]
	v_mul_f64 v[131:132], v[127:128], s[34:35]
	v_fma_f64 v[133:134], v[129:130], s[24:25], -v[131:132]
	v_fma_f64 v[50:51], v[129:130], s[24:25], v[131:132]
	v_add_f64 v[44:45], v[133:134], v[44:45]
	v_add_f64 v[133:134], v[32:33], -v[10:11]
	v_add_f64 v[50:51], v[50:51], v[52:53]
	v_add_f64 v[10:11], v[18:19], v[10:11]
	v_mul_f64 v[18:19], v[123:124], s[14:15]
	v_mul_f64 v[158:159], v[133:134], s[12:13]
	v_add_f64 v[8:9], v[10:11], v[8:9]
	v_fma_f64 v[160:161], v[156:157], s[28:29], v[158:159]
	v_fma_f64 v[52:53], v[156:157], s[28:29], -v[158:159]
	v_add_f64 v[0:1], v[8:9], v[0:1]
	v_add_f64 v[46:47], v[160:161], v[46:47]
	v_add_f64 v[160:161], v[34:35], -v[12:13]
	v_add_f64 v[48:49], v[52:53], v[48:49]
	v_add_f64 v[34:35], v[38:39], v[34:35]
	v_mul_f64 v[164:165], v[160:161], s[12:13]
	v_fma_f64 v[166:167], v[162:163], s[28:29], -v[164:165]
	v_fma_f64 v[52:53], v[162:163], s[28:29], v[164:165]
	v_add_f64 v[44:45], v[166:167], v[44:45]
	v_add_f64 v[166:167], v[28:29], -v[135:136]
	v_add_f64 v[52:53], v[52:53], v[50:51]
	v_mul_f64 v[170:171], v[166:167], s[36:37]
	v_mul_f64 v[8:9], v[166:167], s[4:5]
	v_fma_f64 v[172:173], v[168:169], s[26:27], v[170:171]
	v_fma_f64 v[50:51], v[168:169], s[26:27], -v[170:171]
	v_add_f64 v[46:47], v[172:173], v[46:47]
	v_add_f64 v[172:173], v[30:31], -v[22:23]
	v_add_f64 v[50:51], v[50:51], v[48:49]
	v_add_f64 v[30:31], v[34:35], v[30:31]
	v_mul_f64 v[176:177], v[172:173], s[36:37]
	v_add_f64 v[22:23], v[30:31], v[22:23]
	v_mul_f64 v[30:31], v[16:17], s[12:13]
	v_fma_f64 v[54:55], v[174:175], s[26:27], v[176:177]
	v_fma_f64 v[178:179], v[174:175], s[26:27], -v[176:177]
	v_add_f64 v[12:13], v[22:23], v[12:13]
	v_fma_f64 v[20:21], v[70:71], s[28:29], -v[30:31]
	v_fma_f64 v[30:31], v[70:71], s[28:29], v[30:31]
	v_mul_f64 v[22:23], v[80:81], s[2:3]
	v_add_f64 v[48:49], v[54:55], v[52:53]
	v_mul_f64 v[52:53], v[16:17], s[36:37]
	v_add_f64 v[12:13], v[12:13], v[2:3]
	v_add_f64 v[20:21], v[20:21], v[107:108]
	;; [unrolled: 1-line block ×3, first 2 shown]
	v_mul_f64 v[82:83], v[166:167], s[12:13]
	v_add_f64 v[44:45], v[178:179], v[44:45]
	v_fma_f64 v[54:55], v[70:71], s[26:27], v[52:53]
	v_fma_f64 v[52:53], v[70:71], s[26:27], -v[52:53]
	v_add_f64 v[12:13], v[12:13], v[56:57]
	v_fma_f64 v[2:3], v[168:169], s[28:29], v[82:83]
	v_fma_f64 v[82:83], v[168:169], s[28:29], -v[82:83]
	v_add_f64 v[54:55], v[54:55], v[95:96]
	v_fma_f64 v[95:96], v[121:122], s[24:25], v[88:89]
	v_add_f64 v[52:53], v[52:53], v[66:67]
	v_fma_f64 v[88:89], v[121:122], s[24:25], -v[88:89]
	v_fma_f64 v[66:67], v[62:63], s[26:27], v[84:85]
	v_add_f64 v[12:13], v[12:13], v[6:7]
	v_add_f64 v[54:55], v[95:96], v[54:55]
	v_mul_f64 v[95:96], v[123:124], s[16:17]
	v_add_f64 v[52:53], v[88:89], v[52:53]
	v_mul_f64 v[88:89], v[90:91], s[42:43]
	;; [unrolled: 2-line block ×3, first 2 shown]
	v_fma_f64 v[97:98], v[125:126], s[24:25], -v[95:96]
	v_fma_f64 v[95:96], v[125:126], s[24:25], v[95:96]
	v_fma_f64 v[84:85], v[70:71], s[22:23], v[68:69]
	v_fma_f64 v[58:59], v[70:71], s[22:23], -v[68:69]
	v_mul_f64 v[68:69], v[16:17], s[2:3]
	v_mul_f64 v[16:17], v[16:17], s[16:17]
	v_add_f64 v[86:87], v[97:98], v[86:87]
	v_fma_f64 v[97:98], v[93:94], s[20:21], v[88:89]
	v_fma_f64 v[88:89], v[93:94], s[20:21], -v[88:89]
	v_add_f64 v[66:67], v[95:96], v[66:67]
	v_add_f64 v[84:85], v[84:85], v[99:100]
	;; [unrolled: 1-line block ×3, first 2 shown]
	v_fma_f64 v[72:73], v[70:71], s[20:21], v[68:69]
	v_fma_f64 v[36:37], v[70:71], s[20:21], -v[68:69]
	v_fma_f64 v[34:35], v[70:71], s[24:25], -v[16:17]
	v_fma_f64 v[16:17], v[70:71], s[24:25], v[16:17]
	v_add_f64 v[54:55], v[97:98], v[54:55]
	v_mul_f64 v[97:98], v[127:128], s[42:43]
	v_add_f64 v[52:53], v[88:89], v[52:53]
	v_mul_f64 v[88:89], v[133:134], s[30:31]
	;; [unrolled: 2-line block ×3, first 2 shown]
	v_add_f64 v[36:37], v[36:37], v[76:77]
	v_add_f64 v[34:35], v[34:35], v[109:110]
	;; [unrolled: 1-line block ×3, first 2 shown]
	v_fma_f64 v[109:110], v[168:169], s[22:23], -v[8:9]
	v_fma_f64 v[99:100], v[129:130], s[20:21], -v[97:98]
	v_fma_f64 v[97:98], v[129:130], s[20:21], v[97:98]
	v_add_f64 v[86:87], v[99:100], v[86:87]
	v_fma_f64 v[99:100], v[156:157], s[18:19], v[88:89]
	v_fma_f64 v[88:89], v[156:157], s[18:19], -v[88:89]
	v_add_f64 v[66:67], v[97:98], v[66:67]
	v_add_f64 v[54:55], v[99:100], v[54:55]
	;; [unrolled: 1-line block ×3, first 2 shown]
	v_mul_f64 v[88:89], v[14:15], s[38:39]
	v_mul_f64 v[99:100], v[160:161], s[30:31]
	v_add_f64 v[2:3], v[2:3], v[54:55]
	v_add_f64 v[6:7], v[82:83], v[52:53]
	v_fma_f64 v[60:61], v[62:63], s[22:23], v[88:89]
	v_fma_f64 v[131:132], v[162:163], s[18:19], -v[99:100]
	v_fma_f64 v[99:100], v[162:163], s[18:19], v[99:100]
	v_add_f64 v[60:61], v[60:61], v[74:75]
	v_mul_f64 v[74:75], v[80:81], s[30:31]
	v_add_f64 v[86:87], v[131:132], v[86:87]
	v_fma_f64 v[131:132], v[62:63], s[22:23], -v[88:89]
	v_add_f64 v[66:67], v[99:100], v[66:67]
	v_mul_f64 v[99:100], v[127:128], s[12:13]
	v_fma_f64 v[42:43], v[121:122], s[18:19], -v[74:75]
	v_fma_f64 v[88:89], v[121:122], s[18:19], v[74:75]
	v_add_f64 v[101:102], v[131:132], v[101:102]
	v_add_f64 v[42:43], v[42:43], v[58:59]
	v_fma_f64 v[58:59], v[125:126], s[18:19], v[103:104]
	v_add_f64 v[84:85], v[88:89], v[84:85]
	v_mul_f64 v[88:89], v[14:15], s[2:3]
	v_add_f64 v[58:59], v[58:59], v[60:61]
	v_mul_f64 v[60:61], v[80:81], s[44:45]
	v_fma_f64 v[95:96], v[62:63], s[20:21], -v[88:89]
	v_fma_f64 v[38:39], v[62:63], s[20:21], v[88:89]
	v_fma_f64 v[88:89], v[125:126], s[26:27], v[18:19]
	v_fma_f64 v[18:19], v[125:126], s[26:27], -v[18:19]
	v_fma_f64 v[64:65], v[121:122], s[28:29], v[60:61]
	v_add_f64 v[95:96], v[95:96], v[105:106]
	v_fma_f64 v[32:33], v[121:122], s[28:29], -v[60:61]
	v_fma_f64 v[105:106], v[125:126], s[18:19], -v[103:104]
	v_add_f64 v[38:39], v[38:39], v[78:79]
	v_fma_f64 v[78:79], v[121:122], s[20:21], -v[22:23]
	v_fma_f64 v[22:23], v[121:122], s[20:21], v[22:23]
	v_add_f64 v[64:65], v[64:65], v[72:73]
	v_mul_f64 v[72:73], v[90:91], s[14:15]
	v_add_f64 v[32:33], v[32:33], v[36:37]
	v_add_f64 v[101:102], v[105:106], v[101:102]
	;; [unrolled: 1-line block ×4, first 2 shown]
	v_fma_f64 v[74:75], v[93:94], s[26:27], v[72:73]
	v_fma_f64 v[40:41], v[93:94], s[26:27], -v[72:73]
	v_add_f64 v[74:75], v[74:75], v[84:85]
	v_mul_f64 v[84:85], v[123:124], s[44:45]
	v_add_f64 v[40:41], v[40:41], v[42:43]
	v_fma_f64 v[97:98], v[125:126], s[28:29], -v[84:85]
	v_add_f64 v[95:96], v[97:98], v[95:96]
	v_mul_f64 v[97:98], v[127:128], s[14:15]
	v_fma_f64 v[42:43], v[129:130], s[26:27], v[97:98]
	v_fma_f64 v[103:104], v[129:130], s[26:27], -v[97:98]
	v_add_f64 v[42:43], v[42:43], v[58:59]
	v_mul_f64 v[58:59], v[90:91], s[30:31]
	v_add_f64 v[101:102], v[103:104], v[101:102]
	v_mul_f64 v[103:104], v[172:173], s[12:13]
	v_fma_f64 v[68:69], v[93:94], s[18:19], v[58:59]
	v_fma_f64 v[28:29], v[93:94], s[18:19], -v[58:59]
	v_fma_f64 v[54:55], v[174:175], s[28:29], v[103:104]
	v_add_f64 v[64:65], v[68:69], v[64:65]
	v_mul_f64 v[68:69], v[133:134], s[42:43]
	v_add_f64 v[28:29], v[28:29], v[32:33]
	v_fma_f64 v[32:33], v[125:126], s[28:29], v[84:85]
	v_mul_f64 v[84:85], v[90:91], s[38:39]
	v_mul_f64 v[90:91], v[90:91], s[12:13]
	v_fma_f64 v[72:73], v[156:157], s[20:21], v[68:69]
	v_fma_f64 v[36:37], v[156:157], s[20:21], -v[68:69]
	v_add_f64 v[32:33], v[32:33], v[38:39]
	v_mul_f64 v[38:39], v[14:15], s[12:13]
	v_mul_f64 v[14:15], v[14:15], s[16:17]
	v_fma_f64 v[10:11], v[93:94], s[22:23], -v[84:85]
	v_fma_f64 v[78:79], v[93:94], s[28:29], -v[90:91]
	v_add_f64 v[72:73], v[72:73], v[74:75]
	v_mul_f64 v[74:75], v[127:128], s[30:31]
	v_add_f64 v[36:37], v[36:37], v[40:41]
	v_fma_f64 v[58:59], v[62:63], s[28:29], v[38:39]
	v_fma_f64 v[38:39], v[62:63], s[28:29], -v[38:39]
	v_fma_f64 v[70:71], v[62:63], s[24:25], v[14:15]
	v_fma_f64 v[14:15], v[62:63], s[24:25], -v[14:15]
	v_mul_f64 v[62:63], v[80:81], s[14:15]
	v_add_f64 v[10:11], v[10:11], v[20:21]
	v_mul_f64 v[20:21], v[160:161], s[4:5]
	v_fma_f64 v[76:77], v[129:130], s[18:19], -v[74:75]
	v_fma_f64 v[74:75], v[129:130], s[18:19], v[74:75]
	v_add_f64 v[58:59], v[58:59], v[113:114]
	v_add_f64 v[38:39], v[38:39], v[115:116]
	;; [unrolled: 1-line block ×4, first 2 shown]
	v_fma_f64 v[80:81], v[121:122], s[26:27], -v[62:63]
	v_fma_f64 v[62:63], v[121:122], s[26:27], v[62:63]
	v_add_f64 v[14:15], v[14:15], v[119:120]
	v_fma_f64 v[105:106], v[162:163], s[22:23], v[20:21]
	v_fma_f64 v[20:21], v[162:163], s[22:23], -v[20:21]
	v_add_f64 v[4:5], v[54:55], v[66:67]
	v_add_f64 v[76:77], v[76:77], v[95:96]
	v_mul_f64 v[95:96], v[160:161], s[42:43]
	v_add_f64 v[32:33], v[74:75], v[32:33]
	v_mul_f64 v[74:75], v[172:173], s[30:31]
	v_add_f64 v[70:71], v[88:89], v[70:71]
	v_add_f64 v[34:35], v[80:81], v[34:35]
	v_fma_f64 v[80:81], v[93:94], s[28:29], v[90:91]
	v_add_f64 v[16:17], v[62:63], v[16:17]
	v_fma_f64 v[90:91], v[129:130], s[28:29], -v[99:100]
	v_add_f64 v[14:15], v[18:19], v[14:15]
	v_mul_f64 v[18:19], v[133:134], s[36:37]
	v_fma_f64 v[40:41], v[162:163], s[20:21], v[95:96]
	v_fma_f64 v[97:98], v[162:163], s[20:21], -v[95:96]
	v_add_f64 v[34:35], v[78:79], v[34:35]
	v_mul_f64 v[78:79], v[172:173], s[34:35]
	v_add_f64 v[16:17], v[80:81], v[16:17]
	v_add_f64 v[14:15], v[90:91], v[14:15]
	v_fma_f64 v[90:91], v[168:169], s[22:23], v[8:9]
	v_add_f64 v[40:41], v[40:41], v[42:43]
	v_mul_f64 v[42:43], v[133:134], s[16:17]
	v_add_f64 v[97:98], v[97:98], v[101:102]
	v_mul_f64 v[101:102], v[127:128], s[38:39]
	v_fma_f64 v[107:108], v[174:175], s[24:25], -v[78:79]
	v_fma_f64 v[78:79], v[174:175], s[24:25], v[78:79]
	v_fma_f64 v[60:61], v[156:157], s[24:25], v[42:43]
	v_fma_f64 v[42:43], v[156:157], s[24:25], -v[42:43]
	v_fma_f64 v[88:89], v[129:130], s[22:23], -v[101:102]
	v_fma_f64 v[62:63], v[129:130], s[22:23], v[101:102]
	v_mul_f64 v[101:102], v[166:167], s[2:3]
	v_add_f64 v[8:9], v[107:108], v[97:98]
	v_add_f64 v[60:61], v[60:61], v[64:65]
	v_mul_f64 v[64:65], v[160:161], s[16:17]
	v_add_f64 v[28:29], v[42:43], v[28:29]
	v_fma_f64 v[113:114], v[168:169], s[20:21], -v[101:102]
	v_fma_f64 v[101:102], v[168:169], s[20:21], v[101:102]
	v_fma_f64 v[68:69], v[162:163], s[24:25], -v[64:65]
	v_fma_f64 v[64:65], v[162:163], s[24:25], v[64:65]
	v_add_f64 v[68:69], v[68:69], v[76:77]
	v_mul_f64 v[76:77], v[123:124], s[2:3]
	v_add_f64 v[64:65], v[64:65], v[32:33]
	v_add_f64 v[32:33], v[12:13], v[26:27]
	;; [unrolled: 1-line block ×3, first 2 shown]
	v_fma_f64 v[95:96], v[125:126], s[20:21], v[76:77]
	v_fma_f64 v[76:77], v[125:126], s[20:21], -v[76:77]
	v_add_f64 v[58:59], v[95:96], v[58:59]
	v_add_f64 v[30:31], v[76:77], v[38:39]
	v_fma_f64 v[76:77], v[93:94], s[22:23], v[84:85]
	v_fma_f64 v[84:85], v[129:130], s[28:29], v[99:100]
	v_mul_f64 v[99:100], v[160:161], s[36:37]
	v_mul_f64 v[95:96], v[133:134], s[4:5]
	v_fma_f64 v[93:94], v[174:175], s[28:29], -v[103:104]
	v_mul_f64 v[103:104], v[172:173], s[2:3]
	v_mul_f64 v[38:39], v[166:167], s[34:35]
	v_add_f64 v[58:59], v[62:63], v[58:59]
	v_add_f64 v[30:31], v[88:89], v[30:31]
	v_mul_f64 v[62:63], v[166:167], s[30:31]
	v_add_f64 v[70:71], v[84:85], v[70:71]
	v_fma_f64 v[80:81], v[162:163], s[26:27], v[99:100]
	v_fma_f64 v[99:100], v[162:163], s[26:27], -v[99:100]
	v_fma_f64 v[88:89], v[156:157], s[22:23], -v[95:96]
	v_add_f64 v[22:23], v[76:77], v[22:23]
	v_fma_f64 v[76:77], v[156:157], s[26:27], -v[18:19]
	v_mul_f64 v[84:85], v[172:173], s[4:5]
	v_fma_f64 v[18:19], v[156:157], s[26:27], v[18:19]
	v_fma_f64 v[95:96], v[156:157], s[22:23], v[95:96]
	;; [unrolled: 1-line block ×4, first 2 shown]
	v_fma_f64 v[38:39], v[168:169], s[24:25], -v[38:39]
	v_fma_f64 v[103:104], v[174:175], s[20:21], -v[103:104]
	v_add_f64 v[0:1], v[93:94], v[86:87]
	v_fma_f64 v[111:112], v[168:169], s[18:19], -v[62:63]
	v_add_f64 v[70:71], v[105:106], v[70:71]
	v_add_f64 v[58:59], v[80:81], v[58:59]
	v_add_f64 v[99:100], v[99:100], v[30:31]
	v_add_f64 v[30:31], v[115:116], v[24:25]
	s_clause 0x1
	buffer_load_dword v24, off, s[48:51], 0 offset:544
	buffer_load_dword v25, off, s[48:51], 0 offset:4
	v_add_f64 v[34:35], v[88:89], v[34:35]
	v_add_f64 v[76:77], v[76:77], v[10:11]
	v_fma_f64 v[88:89], v[174:175], s[18:19], v[74:75]
	v_fma_f64 v[42:43], v[174:175], s[22:23], -v[84:85]
	v_fma_f64 v[84:85], v[174:175], s[22:23], v[84:85]
	v_fma_f64 v[62:63], v[168:169], s[18:19], v[62:63]
	v_add_f64 v[80:81], v[18:19], v[22:23]
	v_fma_f64 v[74:75], v[174:175], s[18:19], -v[74:75]
	v_add_f64 v[95:96], v[95:96], v[16:17]
	v_add_f64 v[105:106], v[20:21], v[14:15]
	;; [unrolled: 1-line block ×16, first 2 shown]
	s_waitcnt vmcnt(1)
	v_mul_u32_u24_e32 v24, 52, v24
	s_waitcnt vmcnt(0)
	v_or_b32_e32 v24, v24, v25
	v_lshlrev_b32_e32 v24, 4, v24
	ds_write_b128 v24, v[30:33]
	ds_write_b128 v24, v[26:29] offset:64
	ds_write_b128 v24, v[20:23] offset:128
	;; [unrolled: 1-line block ×12, first 2 shown]
.LBB0_29:
	s_or_b32 exec_lo, exec_lo, s1
	s_waitcnt lgkmcnt(0)
	s_barrier
	buffer_gl0_inv
	ds_read_b128 v[4:7], v92 offset:2496
	ds_read_b128 v[8:11], v92 offset:3328
	;; [unrolled: 1-line block ×6, first 2 shown]
	s_clause 0x3
	buffer_load_dword v64, off, s[48:51], 0 offset:700
	buffer_load_dword v65, off, s[48:51], 0 offset:704
	;; [unrolled: 1-line block ×4, first 2 shown]
	ds_read_b128 v[24:27], v92 offset:4160
	ds_read_b128 v[28:31], v92 offset:8320
	;; [unrolled: 1-line block ×3, first 2 shown]
	s_clause 0x3
	buffer_load_dword v72, off, s[48:51], 0 offset:664
	buffer_load_dword v73, off, s[48:51], 0 offset:668
	;; [unrolled: 1-line block ×4, first 2 shown]
	ds_read_b128 v[36:39], v92 offset:10816
	ds_read_b128 v[40:43], v92 offset:6656
	s_clause 0x3
	buffer_load_dword v82, off, s[48:51], 0 offset:644
	buffer_load_dword v83, off, s[48:51], 0 offset:648
	;; [unrolled: 1-line block ×4, first 2 shown]
	s_mov_b32 s0, 0x36b3c0b5
	s_mov_b32 s4, 0xe976ee23
	;; [unrolled: 1-line block ×20, first 2 shown]
	s_waitcnt vmcnt(8) lgkmcnt(10)
	v_mul_f64 v[44:45], v[66:67], v[6:7]
	v_mul_f64 v[46:47], v[66:67], v[4:5]
	s_waitcnt lgkmcnt(9)
	v_mul_f64 v[48:49], v[66:67], v[10:11]
	v_mul_f64 v[50:51], v[66:67], v[8:9]
	s_waitcnt vmcnt(4) lgkmcnt(8)
	v_mul_f64 v[52:53], v[74:75], v[14:15]
	v_mul_f64 v[54:55], v[74:75], v[12:13]
	s_waitcnt lgkmcnt(7)
	v_mul_f64 v[56:57], v[74:75], v[18:19]
	v_mul_f64 v[58:59], v[74:75], v[16:17]
	s_waitcnt vmcnt(0) lgkmcnt(6)
	v_mul_f64 v[60:61], v[84:85], v[22:23]
	v_mul_f64 v[62:63], v[84:85], v[20:21]
	s_waitcnt lgkmcnt(3)
	v_mul_f64 v[66:67], v[84:85], v[30:31]
	v_mul_f64 v[68:69], v[84:85], v[28:29]
	v_fma_f64 v[44:45], v[64:65], v[4:5], v[44:45]
	v_fma_f64 v[46:47], v[64:65], v[6:7], -v[46:47]
	ds_read_b128 v[4:7], v92 offset:9152
	s_clause 0x3
	buffer_load_dword v78, off, s[48:51], 0 offset:628
	buffer_load_dword v79, off, s[48:51], 0 offset:632
	buffer_load_dword v80, off, s[48:51], 0 offset:636
	buffer_load_dword v81, off, s[48:51], 0 offset:640
	v_fma_f64 v[48:49], v[64:65], v[8:9], v[48:49]
	v_fma_f64 v[50:51], v[64:65], v[10:11], -v[50:51]
	v_fma_f64 v[52:53], v[72:73], v[12:13], v[52:53]
	v_fma_f64 v[54:55], v[72:73], v[14:15], -v[54:55]
	;; [unrolled: 2-line block ×3, first 2 shown]
	ds_read_b128 v[8:11], v92 offset:12480
	ds_read_b128 v[16:19], v92 offset:11648
	v_fma_f64 v[60:61], v[82:83], v[20:21], v[60:61]
	v_fma_f64 v[62:63], v[82:83], v[22:23], -v[62:63]
	ds_read_b128 v[12:15], v92 offset:13312
	v_fma_f64 v[66:67], v[82:83], v[28:29], v[66:67]
	v_fma_f64 v[68:69], v[82:83], v[30:31], -v[68:69]
	s_waitcnt vmcnt(0) lgkmcnt(6)
	v_mul_f64 v[64:65], v[80:81], v[34:35]
	v_mul_f64 v[70:71], v[80:81], v[32:33]
	s_waitcnt lgkmcnt(5)
	v_mul_f64 v[72:73], v[80:81], v[38:39]
	v_mul_f64 v[74:75], v[80:81], v[36:37]
	s_clause 0x3
	buffer_load_dword v80, off, s[48:51], 0 offset:720
	buffer_load_dword v81, off, s[48:51], 0 offset:724
	;; [unrolled: 1-line block ×4, first 2 shown]
	ds_read_b128 v[20:23], v92 offset:14144
	ds_read_b128 v[28:31], v92 offset:14976
	v_fma_f64 v[32:33], v[78:79], v[32:33], v[64:65]
	v_fma_f64 v[34:35], v[78:79], v[34:35], -v[70:71]
	v_fma_f64 v[36:37], v[78:79], v[36:37], v[72:73]
	v_fma_f64 v[38:39], v[78:79], v[38:39], -v[74:75]
	s_waitcnt vmcnt(0) lgkmcnt(4)
	v_mul_f64 v[64:65], v[82:83], v[10:11]
	v_mul_f64 v[76:77], v[82:83], v[8:9]
	s_waitcnt lgkmcnt(2)
	v_mul_f64 v[70:71], v[82:83], v[14:15]
	v_mul_f64 v[72:73], v[82:83], v[12:13]
	v_fma_f64 v[64:65], v[80:81], v[8:9], v[64:65]
	v_fma_f64 v[74:75], v[80:81], v[10:11], -v[76:77]
	ds_read_b128 v[8:11], v92 offset:15808
	s_clause 0x3
	buffer_load_dword v82, off, s[48:51], 0 offset:684
	buffer_load_dword v83, off, s[48:51], 0 offset:688
	;; [unrolled: 1-line block ×4, first 2 shown]
	v_fma_f64 v[70:71], v[80:81], v[12:13], v[70:71]
	v_fma_f64 v[72:73], v[80:81], v[14:15], -v[72:73]
	s_waitcnt vmcnt(0) lgkmcnt(1)
	v_mul_f64 v[76:77], v[84:85], v[30:31]
	v_mul_f64 v[12:13], v[84:85], v[28:29]
	s_waitcnt lgkmcnt(0)
	v_mul_f64 v[14:15], v[84:85], v[10:11]
	v_mul_f64 v[78:79], v[84:85], v[8:9]
	s_clause 0x3
	buffer_load_dword v84, off, s[48:51], 0 offset:760
	buffer_load_dword v85, off, s[48:51], 0 offset:764
	;; [unrolled: 1-line block ×4, first 2 shown]
	v_fma_f64 v[28:29], v[82:83], v[28:29], v[76:77]
	v_fma_f64 v[12:13], v[82:83], v[30:31], -v[12:13]
	v_fma_f64 v[80:81], v[82:83], v[8:9], v[14:15]
	v_fma_f64 v[78:79], v[82:83], v[10:11], -v[78:79]
	v_add_f64 v[82:83], v[52:53], v[64:65]
	v_add_f64 v[52:53], v[52:53], -v[64:65]
	v_add_f64 v[64:65], v[60:61], v[32:33]
	v_add_f64 v[32:33], v[32:33], -v[60:61]
	;; [unrolled: 2-line block ×3, first 2 shown]
	s_waitcnt vmcnt(0)
	v_mul_f64 v[30:31], v[86:87], v[26:27]
	v_mul_f64 v[76:77], v[86:87], v[24:25]
	s_clause 0xb
	buffer_load_dword v86, off, s[48:51], 0 offset:744
	buffer_load_dword v87, off, s[48:51], 0 offset:748
	;; [unrolled: 1-line block ×12, first 2 shown]
	v_fma_f64 v[24:25], v[84:85], v[24:25], v[30:31]
	v_fma_f64 v[26:27], v[84:85], v[26:27], -v[76:77]
	v_add_f64 v[30:31], v[44:45], v[28:29]
	v_add_f64 v[76:77], v[46:47], v[12:13]
	;; [unrolled: 1-line block ×3, first 2 shown]
	v_add_f64 v[54:55], v[54:55], -v[74:75]
	v_add_f64 v[74:75], v[62:63], v[34:35]
	v_add_f64 v[34:35], v[34:35], -v[62:63]
	v_add_f64 v[60:61], v[82:83], v[30:31]
	v_add_f64 v[62:63], v[84:85], v[76:77]
	;; [unrolled: 1-line block ×4, first 2 shown]
	s_waitcnt vmcnt(8)
	v_mul_f64 v[8:9], v[88:89], v[42:43]
	v_mul_f64 v[10:11], v[88:89], v[40:41]
	s_waitcnt vmcnt(0)
	v_mul_f64 v[14:15], v[101:102], v[18:19]
	v_fma_f64 v[40:41], v[86:87], v[40:41], v[8:9]
	v_fma_f64 v[42:43], v[86:87], v[42:43], -v[10:11]
	v_mul_f64 v[86:87], v[101:102], v[16:17]
	s_clause 0x3
	buffer_load_dword v101, off, s[48:51], 0 offset:896
	buffer_load_dword v102, off, s[48:51], 0 offset:900
	;; [unrolled: 1-line block ×4, first 2 shown]
	v_mul_f64 v[8:9], v[97:98], v[6:7]
	v_mul_f64 v[10:11], v[97:98], v[4:5]
	v_fma_f64 v[97:98], v[99:100], v[16:17], v[14:15]
	v_add_f64 v[16:17], v[44:45], -v[28:29]
	v_add_f64 v[44:45], v[64:65], -v[82:83]
	;; [unrolled: 1-line block ×4, first 2 shown]
	v_add_f64 v[64:65], v[32:33], v[52:53]
	v_fma_f64 v[28:29], v[99:100], v[18:19], -v[86:87]
	v_add_f64 v[18:19], v[46:47], -v[12:13]
	v_fma_f64 v[93:94], v[95:96], v[4:5], v[8:9]
	v_fma_f64 v[95:96], v[95:96], v[6:7], -v[10:11]
	ds_read_b128 v[4:7], v92
	ds_read_b128 v[8:11], v92 offset:832
	ds_read_b128 v[12:15], v92 offset:16640
	s_clause 0x3
	buffer_load_dword v107, off, s[48:51], 0 offset:880
	buffer_load_dword v108, off, s[48:51], 0 offset:884
	;; [unrolled: 1-line block ×4, first 2 shown]
	v_add_f64 v[46:47], v[74:75], -v[84:85]
	v_add_f64 v[86:87], v[32:33], -v[52:53]
	;; [unrolled: 1-line block ×6, first 2 shown]
	v_mul_f64 v[76:77], v[44:45], s[0:1]
	v_add_f64 v[32:33], v[16:17], -v[32:33]
	v_add_f64 v[16:17], v[64:65], v[16:17]
	v_mul_f64 v[30:31], v[30:31], s[20:21]
	s_waitcnt vmcnt(0) lgkmcnt(0)
	s_barrier
	buffer_gl0_inv
	v_add_f64 v[4:5], v[4:5], v[60:61]
	v_add_f64 v[6:7], v[6:7], v[62:63]
	v_mul_f64 v[86:87], v[86:87], s[4:5]
	v_mul_f64 v[99:100], v[99:100], s[4:5]
	;; [unrolled: 1-line block ×4, first 2 shown]
	v_fma_f64 v[76:77], v[82:83], s[14:15], -v[76:77]
	v_fma_f64 v[44:45], v[44:45], s[0:1], v[30:31]
	v_fma_f64 v[30:31], v[82:83], s[18:19], -v[30:31]
	v_fma_f64 v[60:61], v[60:61], s[12:13], v[4:5]
	v_fma_f64 v[62:63], v[62:63], s[12:13], v[6:7]
	v_fma_f64 v[52:53], v[52:53], s[2:3], -v[86:87]
	v_fma_f64 v[86:87], v[32:33], s[22:23], v[86:87]
	v_fma_f64 v[32:33], v[32:33], s[24:25], -v[64:65]
	v_add_f64 v[64:65], v[56:57], v[70:71]
	v_add_f64 v[56:57], v[56:57], -v[70:71]
	v_add_f64 v[70:71], v[36:37], -v[66:67]
	v_add_f64 v[36:37], v[66:67], v[36:37]
	v_add_f64 v[66:67], v[68:69], v[38:39]
	v_add_f64 v[38:39], v[38:39], -v[68:69]
	v_add_f64 v[76:77], v[76:77], v[60:61]
	v_add_f64 v[44:45], v[44:45], v[60:61]
	;; [unrolled: 1-line block ×3, first 2 shown]
	v_fma_f64 v[52:53], v[16:17], s[16:17], v[52:53]
	v_fma_f64 v[32:33], v[16:17], s[16:17], v[32:33]
	v_add_f64 v[68:69], v[64:65], v[105:106]
	v_mul_f64 v[88:89], v[103:104], v[22:23]
	v_mul_f64 v[90:91], v[103:104], v[20:21]
	v_fma_f64 v[20:21], v[101:102], v[20:21], v[88:89]
	v_fma_f64 v[22:23], v[101:102], v[22:23], -v[90:91]
	v_add_f64 v[88:89], v[34:35], v[54:55]
	v_add_f64 v[54:55], v[54:55], -v[18:19]
	v_mul_f64 v[90:91], v[46:47], s[0:1]
	v_add_f64 v[34:35], v[18:19], -v[34:35]
	v_mul_f64 v[101:102], v[109:110], v[14:15]
	v_mul_f64 v[103:104], v[109:110], v[12:13]
	v_fma_f64 v[46:47], v[46:47], s[0:1], v[74:75]
	v_fma_f64 v[74:75], v[84:85], s[18:19], -v[74:75]
	v_add_f64 v[109:110], v[42:43], v[22:23]
	v_add_f64 v[18:19], v[88:89], v[18:19]
	v_mul_f64 v[88:89], v[54:55], s[2:3]
	v_fma_f64 v[90:91], v[84:85], s[14:15], -v[90:91]
	v_fma_f64 v[54:55], v[54:55], s[2:3], -v[99:100]
	v_fma_f64 v[99:100], v[34:35], s[22:23], v[99:100]
	v_add_f64 v[84:85], v[50:51], v[78:79]
	v_add_f64 v[46:47], v[46:47], v[62:63]
	;; [unrolled: 1-line block ×3, first 2 shown]
	v_add_f64 v[50:51], v[50:51], -v[78:79]
	v_add_f64 v[74:75], v[105:106], -v[36:37]
	;; [unrolled: 1-line block ×4, first 2 shown]
	v_add_f64 v[36:37], v[36:37], v[68:69]
	v_add_f64 v[68:69], v[48:49], -v[70:71]
	v_add_f64 v[22:23], v[42:43], -v[22:23]
	v_fma_f64 v[34:35], v[34:35], s[24:25], -v[88:89]
	v_add_f64 v[82:83], v[90:91], v[62:63]
	v_fma_f64 v[54:55], v[18:19], s[16:17], v[54:55]
	v_add_f64 v[88:89], v[58:59], v[72:73]
	v_fma_f64 v[90:91], v[107:108], v[12:13], v[101:102]
	v_fma_f64 v[101:102], v[107:108], v[14:15], -v[103:104]
	v_add_f64 v[58:59], v[58:59], -v[72:73]
	v_fma_f64 v[72:73], v[16:17], s[16:17], v[86:87]
	v_fma_f64 v[80:81], v[18:19], s[16:17], v[99:100]
	v_add_f64 v[107:108], v[40:41], v[20:21]
	v_add_f64 v[20:21], v[40:41], -v[20:21]
	v_add_f64 v[40:41], v[97:98], -v[93:94]
	v_add_f64 v[8:9], v[8:9], v[36:37]
	v_fma_f64 v[34:35], v[18:19], s[16:17], v[34:35]
	v_add_f64 v[14:15], v[52:53], v[82:83]
	v_add_f64 v[12:13], v[76:77], -v[54:55]
	v_add_f64 v[62:63], v[88:89], v[84:85]
	v_add_f64 v[16:17], v[54:55], v[76:77]
	;; [unrolled: 1-line block ×3, first 2 shown]
	v_add_f64 v[76:77], v[84:85], -v[66:67]
	v_add_f64 v[86:87], v[66:67], -v[88:89]
	;; [unrolled: 1-line block ×3, first 2 shown]
	v_add_f64 v[52:53], v[38:39], v[58:59]
	v_add_f64 v[82:83], v[70:71], -v[56:57]
	v_add_f64 v[103:104], v[26:27], v[101:102]
	v_add_f64 v[56:57], v[56:57], -v[48:49]
	v_add_f64 v[99:100], v[24:25], v[90:91]
	v_add_f64 v[84:85], v[88:89], -v[84:85]
	v_add_f64 v[88:89], v[38:39], -v[58:59]
	v_add_f64 v[38:39], v[50:51], -v[38:39]
	;; [unrolled: 1-line block ×3, first 2 shown]
	v_mul_f64 v[70:71], v[78:79], s[0:1]
	v_add_f64 v[26:27], v[26:27], -v[101:102]
	v_add_f64 v[24:25], v[24:25], -v[90:91]
	v_fma_f64 v[36:37], v[36:37], s[12:13], v[8:9]
	v_add_f64 v[62:63], v[66:67], v[62:63]
	v_add_f64 v[48:49], v[54:55], v[48:49]
	v_mul_f64 v[54:55], v[74:75], s[20:21]
	v_mul_f64 v[66:67], v[76:77], s[20:21]
	;; [unrolled: 1-line block ×3, first 2 shown]
	v_add_f64 v[76:77], v[93:94], v[97:98]
	v_add_f64 v[50:51], v[52:53], v[50:51]
	v_mul_f64 v[52:53], v[82:83], s[4:5]
	v_add_f64 v[82:83], v[95:96], v[28:29]
	v_add_f64 v[105:106], v[109:110], v[103:104]
	v_mul_f64 v[42:43], v[56:57], s[2:3]
	v_add_f64 v[28:29], v[28:29], -v[95:96]
	v_add_f64 v[101:102], v[107:108], v[99:100]
	v_mul_f64 v[88:89], v[88:89], s[4:5]
	v_mul_f64 v[90:91], v[58:59], s[2:3]
	v_fma_f64 v[70:71], v[64:65], s[14:15], -v[70:71]
	v_add_f64 v[10:11], v[10:11], v[62:63]
	v_fma_f64 v[78:79], v[78:79], s[0:1], v[54:55]
	v_fma_f64 v[86:87], v[86:87], s[0:1], v[66:67]
	v_fma_f64 v[74:75], v[84:85], s[14:15], -v[74:75]
	v_add_f64 v[93:94], v[99:100], -v[76:77]
	v_add_f64 v[95:96], v[76:77], -v[107:108]
	v_fma_f64 v[54:55], v[64:65], s[18:19], -v[54:55]
	v_fma_f64 v[64:65], v[84:85], s[18:19], -v[66:67]
	v_fma_f64 v[66:67], v[68:69], s[22:23], v[52:53]
	v_add_f64 v[84:85], v[82:83], v[105:106]
	v_add_f64 v[97:98], v[103:104], -v[82:83]
	v_add_f64 v[82:83], v[82:83], -v[109:110]
	v_fma_f64 v[52:53], v[56:57], s[2:3], -v[52:53]
	v_add_f64 v[56:57], v[28:29], -v[22:23]
	v_fma_f64 v[42:43], v[68:69], s[24:25], -v[42:43]
	v_add_f64 v[68:69], v[22:23], -v[26:27]
	v_add_f64 v[76:77], v[76:77], v[101:102]
	v_add_f64 v[101:102], v[40:41], v[20:21]
	v_add_f64 v[105:106], v[20:21], -v[24:25]
	v_add_f64 v[20:21], v[40:41], -v[20:21]
	v_fma_f64 v[58:59], v[58:59], s[2:3], -v[88:89]
	v_add_f64 v[99:100], v[107:108], -v[99:100]
	v_add_f64 v[22:23], v[28:29], v[22:23]
	v_fma_f64 v[88:89], v[38:39], s[22:23], v[88:89]
	v_fma_f64 v[38:39], v[38:39], s[24:25], -v[90:91]
	v_add_f64 v[90:91], v[109:110], -v[103:104]
	v_mul_f64 v[93:94], v[93:94], s[20:21]
	v_mul_f64 v[107:108], v[95:96], s[0:1]
	v_add_f64 v[28:29], v[26:27], -v[28:29]
	v_fma_f64 v[62:63], v[62:63], s[12:13], v[10:11]
	v_add_f64 v[40:41], v[24:25], -v[40:41]
	v_add_f64 v[2:3], v[2:3], v[84:85]
	v_mul_f64 v[97:98], v[97:98], s[20:21]
	v_mul_f64 v[103:104], v[82:83], s[0:1]
	v_add_f64 v[78:79], v[78:79], v[36:37]
	v_mul_f64 v[56:57], v[56:57], s[4:5]
	v_fma_f64 v[66:67], v[48:49], s[16:17], v[66:67]
	v_mul_f64 v[109:110], v[68:69], s[2:3]
	v_add_f64 v[0:1], v[0:1], v[76:77]
	v_add_f64 v[101:102], v[101:102], v[24:25]
	v_mul_f64 v[111:112], v[105:106], s[2:3]
	v_mul_f64 v[113:114], v[20:21], s[4:5]
	v_add_f64 v[54:55], v[54:55], v[36:37]
	v_add_f64 v[70:71], v[70:71], v[36:37]
	;; [unrolled: 1-line block ×3, first 2 shown]
	v_fma_f64 v[52:53], v[48:49], s[16:17], v[52:53]
	v_add_f64 v[20:21], v[80:81], v[44:45]
	v_add_f64 v[22:23], v[46:47], -v[72:73]
	v_fma_f64 v[95:96], v[95:96], s[0:1], v[93:94]
	v_fma_f64 v[107:108], v[99:100], s[14:15], -v[107:108]
	v_fma_f64 v[93:94], v[99:100], s[18:19], -v[93:94]
	v_add_f64 v[86:87], v[86:87], v[62:63]
	v_add_f64 v[74:75], v[74:75], v[62:63]
	v_fma_f64 v[84:85], v[84:85], s[12:13], v[2:3]
	v_fma_f64 v[82:83], v[82:83], s[0:1], v[97:98]
	v_fma_f64 v[99:100], v[90:91], s[14:15], -v[103:104]
	v_fma_f64 v[90:91], v[90:91], s[18:19], -v[97:98]
	v_fma_f64 v[97:98], v[28:29], s[22:23], v[56:57]
	v_add_f64 v[62:63], v[64:65], v[62:63]
	v_fma_f64 v[28:29], v[28:29], s[24:25], -v[109:110]
	v_fma_f64 v[64:65], v[50:51], s[16:17], v[88:89]
	v_fma_f64 v[76:77], v[76:77], s[12:13], v[0:1]
	v_fma_f64 v[56:57], v[68:69], s[2:3], -v[56:57]
	v_fma_f64 v[68:69], v[40:41], s[24:25], -v[111:112]
	v_fma_f64 v[40:41], v[40:41], s[22:23], v[113:114]
	v_fma_f64 v[103:104], v[105:106], s[2:3], -v[113:114]
	v_fma_f64 v[88:89], v[50:51], s[16:17], v[38:39]
	v_fma_f64 v[105:106], v[48:49], s[16:17], v[42:43]
	;; [unrolled: 1-line block ×3, first 2 shown]
	v_add_f64 v[24:25], v[34:35], v[30:31]
	v_add_f64 v[26:27], v[60:61], -v[32:33]
	s_mov_b32 s0, 0xe8584caa
	s_mov_b32 s1, 0xbfebb67a
	v_add_f64 v[38:39], v[86:87], -v[66:67]
	v_add_f64 v[58:59], v[66:67], v[86:87]
	s_mov_b32 s3, 0x3febb67a
	v_add_f64 v[82:83], v[82:83], v[84:85]
	v_add_f64 v[99:100], v[99:100], v[84:85]
	;; [unrolled: 1-line block ×3, first 2 shown]
	v_fma_f64 v[90:91], v[115:116], s[16:17], v[97:98]
	s_mov_b32 s2, s0
	v_fma_f64 v[97:98], v[115:116], s[16:17], v[28:29]
	v_add_f64 v[28:29], v[30:31], -v[34:35]
	v_add_f64 v[30:31], v[32:33], v[60:61]
	v_add_f64 v[32:33], v[44:45], -v[80:81]
	v_add_f64 v[34:35], v[72:73], v[46:47]
	v_add_f64 v[36:37], v[64:65], v[78:79]
	;; [unrolled: 1-line block ×5, first 2 shown]
	v_fma_f64 v[93:94], v[101:102], s[16:17], v[40:41]
	v_add_f64 v[40:41], v[88:89], v[54:55]
	v_add_f64 v[42:43], v[62:63], -v[105:106]
	v_add_f64 v[44:45], v[70:71], -v[50:51]
	v_add_f64 v[46:47], v[52:53], v[74:75]
	v_add_f64 v[48:49], v[50:51], v[70:71]
	v_add_f64 v[50:51], v[74:75], -v[52:53]
	v_add_f64 v[52:53], v[54:55], -v[88:89]
	v_add_f64 v[54:55], v[105:106], v[62:63]
	v_fma_f64 v[111:112], v[115:116], s[16:17], v[56:57]
	v_add_f64 v[56:57], v[78:79], -v[64:65]
	ds_write_b128 v92, v[4:7]
	ds_write_b128 v92, v[20:23] offset:832
	ds_write_b128 v92, v[24:27] offset:1664
	;; [unrolled: 1-line block ×13, first 2 shown]
	buffer_load_dword v4, off, s[48:51], 0 offset:872 ; 4-byte Folded Reload
	v_fma_f64 v[109:110], v[101:102], s[16:17], v[68:69]
	v_fma_f64 v[101:102], v[101:102], s[16:17], v[103:104]
	v_add_f64 v[60:61], v[90:91], v[95:96]
	v_add_f64 v[62:63], v[82:83], -v[93:94]
	v_add_f64 v[64:65], v[97:98], v[76:77]
	v_add_f64 v[76:77], v[76:77], -v[97:98]
	v_add_f64 v[80:81], v[95:96], -v[90:91]
	v_add_f64 v[82:83], v[93:94], v[82:83]
	v_add_f64 v[68:69], v[107:108], -v[111:112]
	v_add_f64 v[72:73], v[111:112], v[107:108]
	;; [unrolled: 2-line block ×4, first 2 shown]
	s_waitcnt vmcnt(0)
	ds_write_b128 v4, v[0:3] offset:11648
	ds_write_b128 v4, v[60:63] offset:12480
	;; [unrolled: 1-line block ×7, first 2 shown]
	s_waitcnt lgkmcnt(0)
	s_barrier
	buffer_gl0_inv
	ds_read_b128 v[0:3], v92 offset:5824
	ds_read_b128 v[4:7], v92 offset:11648
	;; [unrolled: 1-line block ×6, first 2 shown]
	s_clause 0x7
	buffer_load_dword v111, off, s[48:51], 0 offset:792
	buffer_load_dword v112, off, s[48:51], 0 offset:796
	;; [unrolled: 1-line block ×8, first 2 shown]
	ds_read_b128 v[24:27], v92
	ds_read_b128 v[28:31], v92 offset:832
	ds_read_b128 v[32:35], v92 offset:13312
	;; [unrolled: 1-line block ×5, first 2 shown]
	s_waitcnt vmcnt(4) lgkmcnt(11)
	v_mul_f64 v[72:73], v[113:114], v[2:3]
	v_mul_f64 v[84:85], v[113:114], v[0:1]
	s_clause 0x3
	buffer_load_dword v113, off, s[48:51], 0 offset:808
	buffer_load_dword v114, off, s[48:51], 0 offset:812
	;; [unrolled: 1-line block ×4, first 2 shown]
	ds_read_b128 v[48:51], v92 offset:14144
	s_clause 0x3
	buffer_load_dword v123, off, s[48:51], 0 offset:856
	buffer_load_dword v124, off, s[48:51], 0 offset:860
	;; [unrolled: 1-line block ×4, first 2 shown]
	s_waitcnt vmcnt(8) lgkmcnt(11)
	v_mul_f64 v[74:75], v[119:120], v[6:7]
	v_mul_f64 v[86:87], v[119:120], v[4:5]
	ds_read_b128 v[52:55], v92 offset:9152
	s_clause 0x3
	buffer_load_dword v119, off, s[48:51], 0 offset:840
	buffer_load_dword v120, off, s[48:51], 0 offset:844
	;; [unrolled: 1-line block ×4, first 2 shown]
	ds_read_b128 v[56:59], v92 offset:3328
	ds_read_b128 v[60:63], v92 offset:4160
	;; [unrolled: 1-line block ×4, first 2 shown]
	s_clause 0x3
	buffer_load_dword v107, off, s[48:51], 0 offset:776
	buffer_load_dword v108, off, s[48:51], 0 offset:780
	;; [unrolled: 1-line block ×4, first 2 shown]
	v_fma_f64 v[0:1], v[111:112], v[0:1], v[72:73]
	v_fma_f64 v[2:3], v[111:112], v[2:3], -v[84:85]
	v_fma_f64 v[4:5], v[117:118], v[4:5], v[74:75]
	ds_read_b128 v[72:75], v92 offset:9984
	ds_read_b128 v[76:79], v92 offset:10816
	ds_read_b128 v[80:83], v92 offset:16640
	s_clause 0x3
	buffer_load_dword v137, off, s[48:51], 0 offset:1056
	buffer_load_dword v138, off, s[48:51], 0 offset:1060
	;; [unrolled: 1-line block ×4, first 2 shown]
	v_fma_f64 v[6:7], v[117:118], v[6:7], -v[86:87]
	s_waitcnt vmcnt(16) lgkmcnt(18)
	v_mul_f64 v[88:89], v[115:116], v[10:11]
	v_mul_f64 v[90:91], v[115:116], v[8:9]
	s_waitcnt vmcnt(12) lgkmcnt(17)
	v_mul_f64 v[93:94], v[125:126], v[14:15]
	v_mul_f64 v[95:96], v[125:126], v[12:13]
	s_clause 0x7
	buffer_load_dword v125, off, s[48:51], 0 offset:976
	buffer_load_dword v126, off, s[48:51], 0 offset:980
	;; [unrolled: 1-line block ×8, first 2 shown]
	s_waitcnt vmcnt(16) lgkmcnt(16)
	v_mul_f64 v[97:98], v[121:122], v[18:19]
	v_mul_f64 v[99:100], v[121:122], v[16:17]
	s_waitcnt vmcnt(12) lgkmcnt(12)
	v_mul_f64 v[101:102], v[109:110], v[34:35]
	v_mul_f64 v[103:104], v[109:110], v[32:33]
	v_fma_f64 v[8:9], v[113:114], v[8:9], v[88:89]
	v_fma_f64 v[10:11], v[113:114], v[10:11], -v[90:91]
	v_fma_f64 v[12:13], v[123:124], v[12:13], v[93:94]
	v_fma_f64 v[14:15], v[123:124], v[14:15], -v[95:96]
	s_clause 0x3
	buffer_load_dword v121, off, s[48:51], 0 offset:992
	buffer_load_dword v122, off, s[48:51], 0 offset:996
	;; [unrolled: 1-line block ×4, first 2 shown]
	s_waitcnt vmcnt(12) lgkmcnt(9)
	v_mul_f64 v[105:106], v[139:140], v[46:47]
	v_mul_f64 v[84:85], v[139:140], v[44:45]
	v_fma_f64 v[16:17], v[119:120], v[16:17], v[97:98]
	v_fma_f64 v[18:19], v[119:120], v[18:19], -v[99:100]
	v_fma_f64 v[32:33], v[107:108], v[32:33], v[101:102]
	v_fma_f64 v[34:35], v[107:108], v[34:35], -v[103:104]
	v_add_f64 v[101:102], v[0:1], v[4:5]
	v_fma_f64 v[105:106], v[137:138], v[44:45], v[105:106]
	v_fma_f64 v[46:47], v[137:138], v[46:47], -v[84:85]
	s_waitcnt vmcnt(8) lgkmcnt(8)
	v_mul_f64 v[86:87], v[127:128], v[50:51]
	v_mul_f64 v[88:89], v[127:128], v[48:49]
	s_clause 0x7
	buffer_load_dword v127, off, s[48:51], 0 offset:1008
	buffer_load_dword v128, off, s[48:51], 0 offset:1012
	;; [unrolled: 1-line block ×8, first 2 shown]
	s_waitcnt vmcnt(12) lgkmcnt(7)
	v_mul_f64 v[90:91], v[133:134], v[54:55]
	v_mul_f64 v[93:94], v[133:134], v[52:53]
	s_clause 0x3
	buffer_load_dword v133, off, s[48:51], 0 offset:1040
	buffer_load_dword v134, off, s[48:51], 0 offset:1044
	;; [unrolled: 1-line block ×4, first 2 shown]
	s_waitcnt vmcnt(12) lgkmcnt(4)
	v_mul_f64 v[95:96], v[123:124], v[66:67]
	v_mul_f64 v[97:98], v[123:124], v[64:65]
	v_fma_f64 v[48:49], v[125:126], v[48:49], v[86:87]
	v_add_f64 v[86:87], v[2:3], v[6:7]
	v_fma_f64 v[50:51], v[125:126], v[50:51], -v[88:89]
	v_add_f64 v[88:89], v[24:25], v[0:1]
	v_fma_f64 v[52:53], v[131:132], v[52:53], v[90:91]
	v_add_f64 v[90:91], v[8:9], v[12:13]
	v_fma_f64 v[54:55], v[131:132], v[54:55], -v[93:94]
	v_add_f64 v[93:94], v[10:11], v[14:15]
	v_fma_f64 v[24:25], v[101:102], -0.5, v[24:25]
	v_add_f64 v[101:102], v[38:39], v[18:19]
	v_fma_f64 v[64:65], v[121:122], v[64:65], v[95:96]
	v_fma_f64 v[66:67], v[121:122], v[66:67], -v[97:98]
	v_add_f64 v[95:96], v[2:3], -v[6:7]
	v_add_f64 v[97:98], v[16:17], v[32:33]
	v_add_f64 v[2:3], v[26:27], v[2:3]
	v_fma_f64 v[26:27], v[86:87], -0.5, v[26:27]
	v_add_f64 v[86:87], v[28:29], v[8:9]
	v_fma_f64 v[28:29], v[90:91], -0.5, v[28:29]
	;; [unrolled: 2-line block ×3, first 2 shown]
	v_add_f64 v[93:94], v[8:9], -v[12:13]
	v_fma_f64 v[8:9], v[95:96], s[2:3], v[24:25]
	v_add_f64 v[2:3], v[2:3], v[6:7]
	v_add_f64 v[12:13], v[86:87], v[12:13]
	;; [unrolled: 1-line block ×3, first 2 shown]
	s_waitcnt vmcnt(8) lgkmcnt(2)
	v_mul_f64 v[99:100], v[129:130], v[74:75]
	s_waitcnt vmcnt(4)
	v_mul_f64 v[107:108], v[117:118], v[70:71]
	v_mul_f64 v[44:45], v[117:118], v[68:69]
	s_clause 0x3
	buffer_load_dword v117, off, s[48:51], 0 offset:960
	buffer_load_dword v118, off, s[48:51], 0 offset:964
	;; [unrolled: 1-line block ×4, first 2 shown]
	v_mul_f64 v[103:104], v[129:130], v[72:73]
	s_waitcnt vmcnt(4) lgkmcnt(1)
	v_mul_f64 v[109:110], v[135:136], v[78:79]
	v_mul_f64 v[111:112], v[135:136], v[76:77]
	v_fma_f64 v[72:73], v[127:128], v[72:73], v[99:100]
	v_fma_f64 v[68:69], v[115:116], v[68:69], v[107:108]
	v_fma_f64 v[70:71], v[115:116], v[70:71], -v[44:45]
	v_add_f64 v[44:45], v[18:19], v[34:35]
	v_fma_f64 v[74:75], v[127:128], v[74:75], -v[103:104]
	v_fma_f64 v[76:77], v[133:134], v[76:77], v[109:110]
	v_fma_f64 v[78:79], v[133:134], v[78:79], -v[111:112]
	v_add_f64 v[99:100], v[36:37], v[16:17]
	v_fma_f64 v[36:37], v[97:98], -0.5, v[36:37]
	v_add_f64 v[97:98], v[18:19], -v[34:35]
	v_add_f64 v[103:104], v[105:106], v[48:49]
	v_fma_f64 v[18:19], v[93:94], s[2:3], v[30:31]
	v_fma_f64 v[38:39], v[44:45], -0.5, v[38:39]
	v_add_f64 v[44:45], v[16:17], -v[32:33]
	s_waitcnt vmcnt(0) lgkmcnt(0)
	v_mul_f64 v[84:85], v[119:120], v[82:83]
	v_mul_f64 v[113:114], v[119:120], v[80:81]
	v_fma_f64 v[80:81], v[117:118], v[80:81], v[84:85]
	v_add_f64 v[84:85], v[0:1], -v[4:5]
	v_add_f64 v[0:1], v[88:89], v[4:5]
	v_add_f64 v[88:89], v[10:11], -v[14:15]
	v_fma_f64 v[82:83], v[117:118], v[82:83], -v[113:114]
	v_fma_f64 v[4:5], v[95:96], s[0:1], v[24:25]
	v_add_f64 v[95:96], v[40:41], v[105:106]
	v_add_f64 v[14:15], v[90:91], v[14:15]
	;; [unrolled: 1-line block ×3, first 2 shown]
	v_fma_f64 v[40:41], v[103:104], -0.5, v[40:41]
	v_add_f64 v[103:104], v[74:75], -v[70:71]
	v_add_f64 v[109:110], v[76:77], -v[80:81]
	v_fma_f64 v[6:7], v[84:85], s[2:3], v[26:27]
	v_fma_f64 v[10:11], v[84:85], s[0:1], v[26:27]
	v_add_f64 v[84:85], v[46:47], v[50:51]
	v_fma_f64 v[16:17], v[88:89], s[0:1], v[28:29]
	v_fma_f64 v[24:25], v[88:89], s[2:3], v[28:29]
	v_add_f64 v[88:89], v[54:55], v[66:67]
	v_fma_f64 v[26:27], v[93:94], s[0:1], v[30:31]
	v_add_f64 v[93:94], v[74:75], v[70:71]
	v_add_f64 v[28:29], v[99:100], v[32:33]
	v_fma_f64 v[32:33], v[97:98], s[0:1], v[36:37]
	v_fma_f64 v[36:37], v[97:98], s[2:3], v[36:37]
	v_add_f64 v[30:31], v[101:102], v[34:35]
	v_fma_f64 v[34:35], v[44:45], s[2:3], v[38:39]
	v_add_f64 v[97:98], v[76:77], v[80:81]
	;; [unrolled: 2-line block ×3, first 2 shown]
	v_add_f64 v[95:96], v[78:79], v[82:83]
	v_add_f64 v[99:100], v[46:47], -v[50:51]
	v_add_f64 v[46:47], v[42:43], v[46:47]
	v_add_f64 v[48:49], v[105:106], -v[48:49]
	v_add_f64 v[101:102], v[60:61], v[72:73]
	v_add_f64 v[74:75], v[62:63], v[74:75]
	v_fma_f64 v[90:91], v[90:91], -0.5, v[60:61]
	v_add_f64 v[72:73], v[72:73], -v[68:69]
	v_fma_f64 v[42:43], v[84:85], -0.5, v[42:43]
	v_add_f64 v[84:85], v[56:57], v[52:53]
	v_fma_f64 v[56:57], v[86:87], -0.5, v[56:57]
	v_add_f64 v[86:87], v[54:55], -v[66:67]
	v_add_f64 v[54:55], v[58:59], v[54:55]
	v_fma_f64 v[58:59], v[88:89], -0.5, v[58:59]
	v_add_f64 v[88:89], v[52:53], -v[64:65]
	v_fma_f64 v[93:94], v[93:94], -0.5, v[62:63]
	v_add_f64 v[105:106], v[20:21], v[76:77]
	v_add_f64 v[107:108], v[78:79], -v[82:83]
	v_add_f64 v[78:79], v[22:23], v[78:79]
	v_fma_f64 v[97:98], v[97:98], -0.5, v[20:21]
	v_fma_f64 v[95:96], v[95:96], -0.5, v[22:23]
	v_fma_f64 v[20:21], v[99:100], s[0:1], v[40:41]
	v_add_f64 v[46:47], v[46:47], v[50:51]
	v_fma_f64 v[40:41], v[99:100], s[2:3], v[40:41]
	v_add_f64 v[60:61], v[101:102], v[68:69]
	v_add_f64 v[62:63], v[74:75], v[70:71]
	v_fma_f64 v[68:69], v[103:104], s[2:3], v[90:91]
	v_fma_f64 v[22:23], v[48:49], s[2:3], v[42:43]
	;; [unrolled: 1-line block ×3, first 2 shown]
	v_add_f64 v[48:49], v[84:85], v[64:65]
	v_fma_f64 v[52:53], v[86:87], s[0:1], v[56:57]
	v_add_f64 v[50:51], v[54:55], v[66:67]
	v_fma_f64 v[56:57], v[86:87], s[2:3], v[56:57]
	v_fma_f64 v[54:55], v[88:89], s[2:3], v[58:59]
	;; [unrolled: 1-line block ×6, first 2 shown]
	v_add_f64 v[72:73], v[105:106], v[80:81]
	v_add_f64 v[74:75], v[78:79], v[82:83]
	v_fma_f64 v[76:77], v[107:108], s[0:1], v[97:98]
	v_fma_f64 v[78:79], v[109:110], s[2:3], v[95:96]
	;; [unrolled: 1-line block ×4, first 2 shown]
	ds_write_b128 v92, v[0:3]
	ds_write_b128 v92, v[4:7] offset:5824
	ds_write_b128 v92, v[8:11] offset:11648
	;; [unrolled: 1-line block ×20, first 2 shown]
	s_waitcnt lgkmcnt(0)
	s_barrier
	buffer_gl0_inv
	ds_read_b128 v[0:3], v92
	ds_read_b128 v[4:7], v92 offset:832
	s_clause 0x3
	buffer_load_dword v18, off, s[48:51], 0 offset:224
	buffer_load_dword v19, off, s[48:51], 0 offset:228
	;; [unrolled: 1-line block ×4, first 2 shown]
	ds_read_b128 v[8:11], v92 offset:8736
	s_clause 0x1
	buffer_load_dword v16, off, s[48:51], 0 offset:168
	buffer_load_dword v17, off, s[48:51], 0 offset:172
	s_mov_b32 s2, 0x1e01e01e
	s_mov_b32 s3, 0x3f4e01e0
	s_mul_hi_u32 s1, s8, 0x222
	s_waitcnt vmcnt(2) lgkmcnt(2)
	v_mul_f64 v[12:13], v[20:21], v[2:3]
	v_mul_f64 v[14:15], v[20:21], v[0:1]
	s_waitcnt vmcnt(1)
	v_mov_b32_e32 v24, v16
	s_waitcnt vmcnt(0)
	v_mad_u64_u32 v[16:17], null, s10, v24, 0
	v_fma_f64 v[12:13], v[18:19], v[0:1], v[12:13]
	v_fma_f64 v[14:15], v[18:19], v[2:3], -v[14:15]
	ds_read_b128 v[0:3], v92 offset:9568
	s_clause 0x4
	buffer_load_dword v31, off, s[48:51], 0 offset:480
	buffer_load_dword v32, off, s[48:51], 0 offset:484
	;; [unrolled: 1-line block ×4, first 2 shown]
	buffer_load_dword v29, off, s[48:51], 0
	v_mul_f64 v[12:13], v[12:13], s[2:3]
	v_mul_f64 v[14:15], v[14:15], s[2:3]
	s_waitcnt vmcnt(1) lgkmcnt(1)
	v_mul_f64 v[18:19], v[33:34], v[10:11]
	v_mul_f64 v[22:23], v[33:34], v[8:9]
	s_clause 0x7
	buffer_load_dword v33, off, s[48:51], 0 offset:240
	buffer_load_dword v34, off, s[48:51], 0 offset:244
	;; [unrolled: 1-line block ×8, first 2 shown]
	s_waitcnt vmcnt(8)
	v_mad_u64_u32 v[20:21], null, s8, v29, 0
	v_mad_u64_u32 v[24:25], null, s11, v24, v[17:18]
	;; [unrolled: 1-line block ×3, first 2 shown]
	v_fma_f64 v[18:19], v[31:32], v[8:9], v[18:19]
	v_fma_f64 v[22:23], v[31:32], v[10:11], -v[22:23]
	ds_read_b128 v[8:11], v92 offset:1664
	v_mov_b32_e32 v17, v24
	v_mov_b32_e32 v21, v29
	v_lshlrev_b64 v[16:17], 4, v[16:17]
	v_lshlrev_b64 v[20:21], 4, v[20:21]
	v_add_co_u32 v16, s0, s6, v16
	v_add_co_ci_u32_e64 v17, s0, s7, v17, s0
	s_waitcnt vmcnt(4)
	v_mul_f64 v[25:26], v[35:36], v[6:7]
	v_mul_f64 v[27:28], v[35:36], v[4:5]
	s_waitcnt vmcnt(0) lgkmcnt(1)
	v_mul_f64 v[29:30], v[40:41], v[2:3]
	v_mul_f64 v[31:32], v[40:41], v[0:1]
	v_add_co_u32 v40, s0, v16, v20
	v_add_co_ci_u32_e64 v41, s0, v17, v21, s0
	v_mul_f64 v[16:17], v[18:19], s[2:3]
	v_mul_f64 v[18:19], v[22:23], s[2:3]
	s_mul_i32 s0, s9, 0x222
	s_add_i32 s1, s1, s0
	s_mul_i32 s0, s8, 0x222
	s_lshl_b64 s[4:5], s[0:1], 4
	s_mul_i32 s1, s9, 0xfffffe12
	v_add_co_u32 v44, s0, v40, s4
	v_add_co_ci_u32_e64 v45, s0, s5, v41, s0
	s_mul_hi_u32 s0, s8, 0xfffffe12
	v_fma_f64 v[24:25], v[33:34], v[4:5], v[25:26]
	v_fma_f64 v[26:27], v[33:34], v[6:7], -v[27:28]
	ds_read_b128 v[4:7], v92 offset:10400
	v_fma_f64 v[36:37], v[38:39], v[0:1], v[29:30]
	v_fma_f64 v[38:39], v[38:39], v[2:3], -v[31:32]
	ds_read_b128 v[0:3], v92 offset:2496
	s_clause 0x3
	buffer_load_dword v58, off, s[48:51], 0 offset:176
	buffer_load_dword v59, off, s[48:51], 0 offset:180
	;; [unrolled: 1-line block ×4, first 2 shown]
	ds_read_b128 v[20:23], v92 offset:11232
	s_clause 0x3
	buffer_load_dword v62, off, s[48:51], 0 offset:448
	buffer_load_dword v63, off, s[48:51], 0 offset:452
	;; [unrolled: 1-line block ×4, first 2 shown]
	ds_read_b128 v[28:31], v92 offset:3328
	ds_read_b128 v[32:35], v92 offset:12064
	s_clause 0x7
	buffer_load_dword v82, off, s[48:51], 0 offset:432
	buffer_load_dword v83, off, s[48:51], 0 offset:436
	;; [unrolled: 1-line block ×8, first 2 shown]
	s_sub_i32 s0, s0, s8
	s_add_i32 s1, s0, s1
	s_mul_i32 s0, s8, 0xfffffe12
	s_lshl_b64 s[6:7], s[0:1], 4
	v_add_co_u32 v52, s0, v44, s6
	v_mul_f64 v[24:25], v[24:25], s[2:3]
	v_mul_f64 v[26:27], v[26:27], s[2:3]
	v_add_co_ci_u32_e64 v53, s0, s7, v45, s0
	v_mul_f64 v[36:37], v[36:37], s[2:3]
	v_mul_f64 v[38:39], v[38:39], s[2:3]
	v_add_co_u32 v70, s0, v52, s4
	v_add_co_ci_u32_e64 v71, s0, s5, v53, s0
	s_waitcnt vmcnt(12) lgkmcnt(5)
	v_mul_f64 v[42:43], v[60:61], v[10:11]
	v_mul_f64 v[46:47], v[60:61], v[8:9]
	s_waitcnt vmcnt(8) lgkmcnt(4)
	v_mul_f64 v[48:49], v[64:65], v[6:7]
	v_mul_f64 v[50:51], v[64:65], v[4:5]
	;; [unrolled: 3-line block ×3, first 2 shown]
	s_waitcnt vmcnt(0) lgkmcnt(2)
	v_mul_f64 v[60:61], v[80:81], v[20:21]
	v_fma_f64 v[42:43], v[58:59], v[8:9], v[42:43]
	v_fma_f64 v[46:47], v[58:59], v[10:11], -v[46:47]
	v_fma_f64 v[48:49], v[62:63], v[4:5], v[48:49]
	v_fma_f64 v[50:51], v[62:63], v[6:7], -v[50:51]
	ds_read_b128 v[4:7], v92 offset:4160
	s_clause 0x3
	buffer_load_dword v72, off, s[48:51], 0 offset:384
	buffer_load_dword v73, off, s[48:51], 0 offset:388
	;; [unrolled: 1-line block ×4, first 2 shown]
	ds_read_b128 v[8:11], v92 offset:12896
	v_mul_f64 v[58:59], v[80:81], v[22:23]
	v_fma_f64 v[22:23], v[78:79], v[22:23], -v[60:61]
	v_fma_f64 v[20:21], v[78:79], v[20:21], v[58:59]
	v_mul_f64 v[22:23], v[22:23], s[2:3]
	v_mul_f64 v[20:21], v[20:21], s[2:3]
	s_waitcnt vmcnt(0) lgkmcnt(3)
	v_mul_f64 v[62:63], v[74:75], v[30:31]
	v_mul_f64 v[64:65], v[74:75], v[28:29]
	s_clause 0x3
	buffer_load_dword v74, off, s[48:51], 0 offset:400
	buffer_load_dword v75, off, s[48:51], 0 offset:404
	;; [unrolled: 1-line block ×4, first 2 shown]
	global_store_dwordx4 v[40:41], v[12:15], off
	global_store_dwordx4 v[44:45], v[16:19], off
	;; [unrolled: 1-line block ×4, first 2 shown]
	v_fma_f64 v[16:17], v[82:83], v[0:1], v[54:55]
	s_clause 0x3
	buffer_load_dword v52, off, s[48:51], 0 offset:368
	buffer_load_dword v53, off, s[48:51], 0 offset:372
	;; [unrolled: 1-line block ×4, first 2 shown]
	v_fma_f64 v[18:19], v[82:83], v[2:3], -v[56:57]
	v_add_co_u32 v36, s0, v70, s6
	v_add_co_ci_u32_e64 v37, s0, s7, v71, s0
	v_mul_f64 v[0:1], v[42:43], s[2:3]
	v_mul_f64 v[2:3], v[46:47], s[2:3]
	v_add_co_u32 v42, s0, v36, s4
	v_add_co_ci_u32_e64 v43, s0, s5, v37, s0
	v_mul_f64 v[12:13], v[48:49], s[2:3]
	v_mul_f64 v[14:15], v[50:51], s[2:3]
	v_add_co_u32 v44, s0, v42, s6
	v_add_co_ci_u32_e64 v45, s0, s7, v43, s0
	v_fma_f64 v[28:29], v[72:73], v[28:29], v[62:63]
	v_fma_f64 v[30:31], v[72:73], v[30:31], -v[64:65]
	v_add_co_u32 v50, s0, v44, s4
	v_mul_f64 v[16:17], v[16:17], s[2:3]
	v_mul_f64 v[18:19], v[18:19], s[2:3]
	v_add_co_ci_u32_e64 v51, s0, s5, v45, s0
	v_mul_f64 v[28:29], v[28:29], s[2:3]
	v_mul_f64 v[30:31], v[30:31], s[2:3]
	s_waitcnt vmcnt(4) lgkmcnt(2)
	v_mul_f64 v[66:67], v[76:77], v[34:35]
	v_mul_f64 v[68:69], v[76:77], v[32:33]
	s_waitcnt vmcnt(0) lgkmcnt(1)
	v_mul_f64 v[38:39], v[54:55], v[6:7]
	v_mul_f64 v[40:41], v[54:55], v[4:5]
	s_clause 0x3
	buffer_load_dword v54, off, s[48:51], 0 offset:352
	buffer_load_dword v55, off, s[48:51], 0 offset:356
	;; [unrolled: 1-line block ×4, first 2 shown]
	global_store_dwordx4 v[36:37], v[0:3], off
	ds_read_b128 v[24:27], v92 offset:4992
	ds_read_b128 v[0:3], v92 offset:5824
	v_fma_f64 v[32:33], v[74:75], v[32:33], v[66:67]
	v_fma_f64 v[34:35], v[74:75], v[34:35], -v[68:69]
	v_fma_f64 v[38:39], v[52:53], v[4:5], v[38:39]
	v_fma_f64 v[40:41], v[52:53], v[6:7], -v[40:41]
	v_add_co_u32 v52, s0, v50, s6
	v_add_co_ci_u32_e64 v53, s0, s7, v51, s0
	ds_read_b128 v[4:7], v92 offset:13728
	v_add_co_u32 v36, s0, v52, s4
	v_add_co_ci_u32_e64 v37, s0, s5, v53, s0
	s_clause 0x3
	buffer_load_dword v62, off, s[48:51], 0 offset:208
	buffer_load_dword v63, off, s[48:51], 0 offset:212
	;; [unrolled: 1-line block ×4, first 2 shown]
	v_mul_f64 v[32:33], v[32:33], s[2:3]
	v_mul_f64 v[34:35], v[34:35], s[2:3]
	global_store_dwordx4 v[42:43], v[12:15], off
	global_store_dwordx4 v[44:45], v[16:19], off
	;; [unrolled: 1-line block ×5, first 2 shown]
	v_add_co_u32 v44, s0, v36, s6
	ds_read_b128 v[12:15], v92 offset:14560
	s_clause 0x3
	buffer_load_dword v58, off, s[48:51], 0 offset:192
	buffer_load_dword v59, off, s[48:51], 0 offset:196
	;; [unrolled: 1-line block ×4, first 2 shown]
	ds_read_b128 v[16:19], v92 offset:6656
	ds_read_b128 v[20:23], v92 offset:15392
	v_add_co_ci_u32_e64 v45, s0, s7, v37, s0
	ds_read_b128 v[28:31], v92 offset:7488
	v_add_co_u32 v50, s0, v44, s4
	v_add_co_ci_u32_e64 v51, s0, s5, v45, s0
	s_waitcnt vmcnt(8) lgkmcnt(7)
	v_mul_f64 v[46:47], v[56:57], v[10:11]
	v_mul_f64 v[48:49], v[56:57], v[8:9]
	v_fma_f64 v[46:47], v[54:55], v[8:9], v[46:47]
	v_mul_f64 v[8:9], v[38:39], s[2:3]
	ds_read_b128 v[36:39], v92 offset:16224
	s_clause 0x3
	buffer_load_dword v76, off, s[48:51], 0 offset:272
	buffer_load_dword v77, off, s[48:51], 0 offset:276
	;; [unrolled: 1-line block ×4, first 2 shown]
	v_fma_f64 v[48:49], v[54:55], v[10:11], -v[48:49]
	s_clause 0x3
	buffer_load_dword v72, off, s[48:51], 0 offset:256
	buffer_load_dword v73, off, s[48:51], 0 offset:260
	;; [unrolled: 1-line block ×4, first 2 shown]
	v_mul_f64 v[10:11], v[40:41], s[2:3]
	s_waitcnt vmcnt(12) lgkmcnt(7)
	v_mul_f64 v[56:57], v[64:65], v[24:25]
	v_mul_f64 v[54:55], v[64:65], v[26:27]
	;; [unrolled: 1-line block ×4, first 2 shown]
	v_fma_f64 v[26:27], v[62:63], v[26:27], -v[56:57]
	v_fma_f64 v[24:25], v[62:63], v[24:25], v[54:55]
	s_waitcnt vmcnt(8) lgkmcnt(5)
	v_mul_f64 v[40:41], v[60:61], v[6:7]
	v_mul_f64 v[42:43], v[60:61], v[4:5]
	v_fma_f64 v[40:41], v[58:59], v[4:5], v[40:41]
	v_fma_f64 v[42:43], v[58:59], v[6:7], -v[42:43]
	v_mul_f64 v[4:5], v[24:25], s[2:3]
	v_mul_f64 v[6:7], v[26:27], s[2:3]
	s_waitcnt vmcnt(4)
	v_mul_f64 v[46:47], v[78:79], v[2:3]
	v_mul_f64 v[48:49], v[78:79], v[0:1]
	s_clause 0x3
	buffer_load_dword v78, off, s[48:51], 0 offset:288
	buffer_load_dword v79, off, s[48:51], 0 offset:292
	;; [unrolled: 1-line block ×4, first 2 shown]
	s_waitcnt vmcnt(4) lgkmcnt(4)
	v_mul_f64 v[52:53], v[74:75], v[14:15]
	v_mul_f64 v[54:55], v[74:75], v[12:13]
	v_fma_f64 v[12:13], v[72:73], v[12:13], v[52:53]
	v_fma_f64 v[14:15], v[72:73], v[14:15], -v[54:55]
	v_mul_f64 v[12:13], v[12:13], s[2:3]
	v_mul_f64 v[14:15], v[14:15], s[2:3]
	s_waitcnt vmcnt(0) lgkmcnt(3)
	v_mul_f64 v[56:57], v[80:81], v[18:19]
	v_mul_f64 v[58:59], v[80:81], v[16:17]
	s_clause 0x3
	buffer_load_dword v80, off, s[48:51], 0 offset:304
	buffer_load_dword v81, off, s[48:51], 0 offset:308
	buffer_load_dword v82, off, s[48:51], 0 offset:312
	buffer_load_dword v83, off, s[48:51], 0 offset:316
	v_fma_f64 v[16:17], v[78:79], v[16:17], v[56:57]
	v_fma_f64 v[18:19], v[78:79], v[18:19], -v[58:59]
	v_mul_f64 v[16:17], v[16:17], s[2:3]
	v_mul_f64 v[18:19], v[18:19], s[2:3]
	s_waitcnt vmcnt(0) lgkmcnt(2)
	v_mul_f64 v[60:61], v[82:83], v[22:23]
	v_mul_f64 v[62:63], v[82:83], v[20:21]
	s_clause 0x3
	buffer_load_dword v82, off, s[48:51], 0 offset:320
	buffer_load_dword v83, off, s[48:51], 0 offset:324
	buffer_load_dword v84, off, s[48:51], 0 offset:328
	buffer_load_dword v85, off, s[48:51], 0 offset:332
	;; [unrolled: 12-line block ×3, first 2 shown]
	global_store_dwordx4 v[44:45], v[8:11], off
	global_store_dwordx4 v[50:51], v[32:35], off
	v_fma_f64 v[8:9], v[76:77], v[0:1], v[46:47]
	v_fma_f64 v[10:11], v[76:77], v[2:3], -v[48:49]
	v_add_co_u32 v32, s0, v50, s6
	v_add_co_ci_u32_e64 v33, s0, s7, v51, s0
	v_mul_f64 v[0:1], v[40:41], s[2:3]
	v_add_co_u32 v34, s0, v32, s4
	v_add_co_ci_u32_e64 v35, s0, s5, v33, s0
	v_mul_f64 v[2:3], v[42:43], s[2:3]
	global_store_dwordx4 v[32:33], v[4:7], off
	v_fma_f64 v[24:25], v[82:83], v[28:29], v[64:65]
	v_fma_f64 v[26:27], v[82:83], v[30:31], -v[66:67]
	v_mul_f64 v[8:9], v[8:9], s[2:3]
	v_mul_f64 v[10:11], v[10:11], s[2:3]
	global_store_dwordx4 v[34:35], v[0:3], off
	v_mul_f64 v[24:25], v[24:25], s[2:3]
	v_mul_f64 v[26:27], v[26:27], s[2:3]
	s_waitcnt vmcnt(0) lgkmcnt(0)
	v_mul_f64 v[68:69], v[86:87], v[38:39]
	v_mul_f64 v[70:71], v[86:87], v[36:37]
	v_fma_f64 v[28:29], v[84:85], v[36:37], v[68:69]
	v_fma_f64 v[30:31], v[84:85], v[38:39], -v[70:71]
	v_add_co_u32 v36, s0, v34, s6
	v_add_co_ci_u32_e64 v37, s0, s7, v35, s0
	v_add_co_u32 v38, s0, v36, s4
	v_add_co_ci_u32_e64 v39, s0, s5, v37, s0
	global_store_dwordx4 v[36:37], v[8:11], off
	v_add_co_u32 v40, s0, v38, s6
	v_add_co_ci_u32_e64 v41, s0, s7, v39, s0
	v_add_co_u32 v4, s0, v40, s4
	v_add_co_ci_u32_e64 v5, s0, s5, v41, s0
	v_mul_f64 v[28:29], v[28:29], s[2:3]
	v_mul_f64 v[30:31], v[30:31], s[2:3]
	v_add_co_u32 v2, s0, v4, s6
	v_add_co_ci_u32_e64 v3, s0, s7, v5, s0
	v_add_co_u32 v0, s0, v2, s4
	v_add_co_ci_u32_e64 v1, s0, s5, v3, s0
	global_store_dwordx4 v[38:39], v[12:15], off
	global_store_dwordx4 v[40:41], v[16:19], off
	;; [unrolled: 1-line block ×5, first 2 shown]
	s_and_b32 exec_lo, exec_lo, vcc_lo
	s_cbranch_execz .LBB0_31
; %bb.30:
	s_clause 0x1
	buffer_load_dword v2, off, s[48:51], 0 offset:160
	buffer_load_dword v3, off, s[48:51], 0 offset:164
	s_waitcnt vmcnt(0)
	global_load_dwordx4 v[2:5], v[2:3], off offset:128
	ds_read_b128 v[6:9], v92 offset:8320
	ds_read_b128 v[10:13], v92 offset:17056
	s_waitcnt vmcnt(0) lgkmcnt(1)
	v_mul_f64 v[14:15], v[8:9], v[4:5]
	v_mul_f64 v[4:5], v[6:7], v[4:5]
	v_fma_f64 v[6:7], v[6:7], v[2:3], v[14:15]
	v_fma_f64 v[4:5], v[2:3], v[8:9], -v[4:5]
	v_mul_f64 v[2:3], v[6:7], s[2:3]
	v_mul_f64 v[4:5], v[4:5], s[2:3]
	v_add_co_u32 v6, vcc_lo, v0, s6
	v_add_co_ci_u32_e32 v7, vcc_lo, s7, v1, vcc_lo
	global_store_dwordx4 v[6:7], v[2:5], off
	s_clause 0x1
	buffer_load_dword v0, off, s[48:51], 0 offset:1096
	buffer_load_dword v1, off, s[48:51], 0 offset:1100
	s_waitcnt vmcnt(0)
	global_load_dwordx4 v[0:3], v[0:1], off offset:672
	s_waitcnt vmcnt(0) lgkmcnt(0)
	v_mul_f64 v[4:5], v[12:13], v[2:3]
	v_mul_f64 v[2:3], v[10:11], v[2:3]
	v_fma_f64 v[4:5], v[10:11], v[0:1], v[4:5]
	v_fma_f64 v[2:3], v[0:1], v[12:13], -v[2:3]
	v_mul_f64 v[0:1], v[4:5], s[2:3]
	v_mul_f64 v[2:3], v[2:3], s[2:3]
	v_add_co_u32 v4, vcc_lo, v6, s4
	v_add_co_ci_u32_e32 v5, vcc_lo, s5, v7, vcc_lo
	global_store_dwordx4 v[4:5], v[0:3], off
.LBB0_31:
	s_endpgm
	.section	.rodata,"a",@progbits
	.p2align	6, 0x0
	.amdhsa_kernel bluestein_single_back_len1092_dim1_dp_op_CI_CI
		.amdhsa_group_segment_fixed_size 17472
		.amdhsa_private_segment_fixed_size 1156
		.amdhsa_kernarg_size 104
		.amdhsa_user_sgpr_count 6
		.amdhsa_user_sgpr_private_segment_buffer 1
		.amdhsa_user_sgpr_dispatch_ptr 0
		.amdhsa_user_sgpr_queue_ptr 0
		.amdhsa_user_sgpr_kernarg_segment_ptr 1
		.amdhsa_user_sgpr_dispatch_id 0
		.amdhsa_user_sgpr_flat_scratch_init 0
		.amdhsa_user_sgpr_private_segment_size 0
		.amdhsa_wavefront_size32 1
		.amdhsa_uses_dynamic_stack 0
		.amdhsa_system_sgpr_private_segment_wavefront_offset 1
		.amdhsa_system_sgpr_workgroup_id_x 1
		.amdhsa_system_sgpr_workgroup_id_y 0
		.amdhsa_system_sgpr_workgroup_id_z 0
		.amdhsa_system_sgpr_workgroup_info 0
		.amdhsa_system_vgpr_workitem_id 0
		.amdhsa_next_free_vgpr 256
		.amdhsa_next_free_sgpr 52
		.amdhsa_reserve_vcc 1
		.amdhsa_reserve_flat_scratch 0
		.amdhsa_float_round_mode_32 0
		.amdhsa_float_round_mode_16_64 0
		.amdhsa_float_denorm_mode_32 3
		.amdhsa_float_denorm_mode_16_64 3
		.amdhsa_dx10_clamp 1
		.amdhsa_ieee_mode 1
		.amdhsa_fp16_overflow 0
		.amdhsa_workgroup_processor_mode 1
		.amdhsa_memory_ordered 1
		.amdhsa_forward_progress 0
		.amdhsa_shared_vgpr_count 0
		.amdhsa_exception_fp_ieee_invalid_op 0
		.amdhsa_exception_fp_denorm_src 0
		.amdhsa_exception_fp_ieee_div_zero 0
		.amdhsa_exception_fp_ieee_overflow 0
		.amdhsa_exception_fp_ieee_underflow 0
		.amdhsa_exception_fp_ieee_inexact 0
		.amdhsa_exception_int_div_zero 0
	.end_amdhsa_kernel
	.text
.Lfunc_end0:
	.size	bluestein_single_back_len1092_dim1_dp_op_CI_CI, .Lfunc_end0-bluestein_single_back_len1092_dim1_dp_op_CI_CI
                                        ; -- End function
	.section	.AMDGPU.csdata,"",@progbits
; Kernel info:
; codeLenInByte = 44100
; NumSgprs: 54
; NumVgprs: 256
; ScratchSize: 1156
; MemoryBound: 0
; FloatMode: 240
; IeeeMode: 1
; LDSByteSize: 17472 bytes/workgroup (compile time only)
; SGPRBlocks: 6
; VGPRBlocks: 31
; NumSGPRsForWavesPerEU: 54
; NumVGPRsForWavesPerEU: 256
; Occupancy: 4
; WaveLimiterHint : 1
; COMPUTE_PGM_RSRC2:SCRATCH_EN: 1
; COMPUTE_PGM_RSRC2:USER_SGPR: 6
; COMPUTE_PGM_RSRC2:TRAP_HANDLER: 0
; COMPUTE_PGM_RSRC2:TGID_X_EN: 1
; COMPUTE_PGM_RSRC2:TGID_Y_EN: 0
; COMPUTE_PGM_RSRC2:TGID_Z_EN: 0
; COMPUTE_PGM_RSRC2:TIDIG_COMP_CNT: 0
	.text
	.p2alignl 6, 3214868480
	.fill 48, 4, 3214868480
	.type	__hip_cuid_a642229df3a0ff90,@object ; @__hip_cuid_a642229df3a0ff90
	.section	.bss,"aw",@nobits
	.globl	__hip_cuid_a642229df3a0ff90
__hip_cuid_a642229df3a0ff90:
	.byte	0                               ; 0x0
	.size	__hip_cuid_a642229df3a0ff90, 1

	.ident	"AMD clang version 19.0.0git (https://github.com/RadeonOpenCompute/llvm-project roc-6.4.0 25133 c7fe45cf4b819c5991fe208aaa96edf142730f1d)"
	.section	".note.GNU-stack","",@progbits
	.addrsig
	.addrsig_sym __hip_cuid_a642229df3a0ff90
	.amdgpu_metadata
---
amdhsa.kernels:
  - .args:
      - .actual_access:  read_only
        .address_space:  global
        .offset:         0
        .size:           8
        .value_kind:     global_buffer
      - .actual_access:  read_only
        .address_space:  global
        .offset:         8
        .size:           8
        .value_kind:     global_buffer
      - .actual_access:  read_only
        .address_space:  global
        .offset:         16
        .size:           8
        .value_kind:     global_buffer
      - .actual_access:  read_only
        .address_space:  global
        .offset:         24
        .size:           8
        .value_kind:     global_buffer
      - .actual_access:  read_only
        .address_space:  global
        .offset:         32
        .size:           8
        .value_kind:     global_buffer
      - .offset:         40
        .size:           8
        .value_kind:     by_value
      - .address_space:  global
        .offset:         48
        .size:           8
        .value_kind:     global_buffer
      - .address_space:  global
        .offset:         56
        .size:           8
        .value_kind:     global_buffer
      - .address_space:  global
        .offset:         64
        .size:           8
        .value_kind:     global_buffer
      - .address_space:  global
        .offset:         72
        .size:           8
        .value_kind:     global_buffer
      - .offset:         80
        .size:           4
        .value_kind:     by_value
      - .address_space:  global
        .offset:         88
        .size:           8
        .value_kind:     global_buffer
      - .address_space:  global
        .offset:         96
        .size:           8
        .value_kind:     global_buffer
    .group_segment_fixed_size: 17472
    .kernarg_segment_align: 8
    .kernarg_segment_size: 104
    .language:       OpenCL C
    .language_version:
      - 2
      - 0
    .max_flat_workgroup_size: 52
    .name:           bluestein_single_back_len1092_dim1_dp_op_CI_CI
    .private_segment_fixed_size: 1156
    .sgpr_count:     54
    .sgpr_spill_count: 0
    .symbol:         bluestein_single_back_len1092_dim1_dp_op_CI_CI.kd
    .uniform_work_group_size: 1
    .uses_dynamic_stack: false
    .vgpr_count:     256
    .vgpr_spill_count: 384
    .wavefront_size: 32
    .workgroup_processor_mode: 1
amdhsa.target:   amdgcn-amd-amdhsa--gfx1030
amdhsa.version:
  - 1
  - 2
...

	.end_amdgpu_metadata
